;; amdgpu-corpus repo=ROCm/rocFFT kind=compiled arch=gfx950 opt=O3
	.text
	.amdgcn_target "amdgcn-amd-amdhsa--gfx950"
	.amdhsa_code_object_version 6
	.protected	fft_rtc_fwd_len3240_factors_3_3_10_6_6_wgs_108_tpt_108_halfLds_half_ip_CI_sbrr_dirReg ; -- Begin function fft_rtc_fwd_len3240_factors_3_3_10_6_6_wgs_108_tpt_108_halfLds_half_ip_CI_sbrr_dirReg
	.globl	fft_rtc_fwd_len3240_factors_3_3_10_6_6_wgs_108_tpt_108_halfLds_half_ip_CI_sbrr_dirReg
	.p2align	8
	.type	fft_rtc_fwd_len3240_factors_3_3_10_6_6_wgs_108_tpt_108_halfLds_half_ip_CI_sbrr_dirReg,@function
fft_rtc_fwd_len3240_factors_3_3_10_6_6_wgs_108_tpt_108_halfLds_half_ip_CI_sbrr_dirReg: ; @fft_rtc_fwd_len3240_factors_3_3_10_6_6_wgs_108_tpt_108_halfLds_half_ip_CI_sbrr_dirReg
; %bb.0:
	s_load_dwordx2 s[12:13], s[0:1], 0x18
	s_load_dwordx4 s[4:7], s[0:1], 0x0
	s_load_dwordx2 s[10:11], s[0:1], 0x50
	v_mul_u32_u24_e32 v1, 0x25f, v0
	v_add_u32_sdwa v6, s2, v1 dst_sel:DWORD dst_unused:UNUSED_PAD src0_sel:DWORD src1_sel:WORD_1
	s_waitcnt lgkmcnt(0)
	s_load_dwordx2 s[8:9], s[12:13], 0x0
	v_mov_b32_e32 v4, 0
	v_cmp_lt_u64_e64 s[2:3], s[6:7], 2
	v_mov_b32_e32 v7, v4
	s_and_b64 vcc, exec, s[2:3]
	v_mov_b64_e32 v[2:3], 0
	s_cbranch_vccnz .LBB0_8
; %bb.1:
	s_load_dwordx2 s[2:3], s[0:1], 0x10
	s_add_u32 s14, s12, 8
	s_addc_u32 s15, s13, 0
	s_mov_b64 s[16:17], 1
	v_mov_b64_e32 v[2:3], 0
	s_waitcnt lgkmcnt(0)
	s_add_u32 s18, s2, 8
	s_addc_u32 s19, s3, 0
.LBB0_2:                                ; =>This Inner Loop Header: Depth=1
	s_load_dwordx2 s[20:21], s[18:19], 0x0
                                        ; implicit-def: $vgpr8_vgpr9
	s_waitcnt lgkmcnt(0)
	v_or_b32_e32 v5, s21, v7
	v_cmp_ne_u64_e32 vcc, 0, v[4:5]
	s_and_saveexec_b64 s[2:3], vcc
	s_xor_b64 s[22:23], exec, s[2:3]
	s_cbranch_execz .LBB0_4
; %bb.3:                                ;   in Loop: Header=BB0_2 Depth=1
	v_cvt_f32_u32_e32 v1, s20
	v_cvt_f32_u32_e32 v5, s21
	s_sub_u32 s2, 0, s20
	s_subb_u32 s3, 0, s21
	v_fmac_f32_e32 v1, 0x4f800000, v5
	v_rcp_f32_e32 v1, v1
	s_nop 0
	v_mul_f32_e32 v1, 0x5f7ffffc, v1
	v_mul_f32_e32 v5, 0x2f800000, v1
	v_trunc_f32_e32 v5, v5
	v_fmac_f32_e32 v1, 0xcf800000, v5
	v_cvt_u32_f32_e32 v5, v5
	v_cvt_u32_f32_e32 v1, v1
	v_mul_lo_u32 v8, s2, v5
	v_mul_hi_u32 v10, s2, v1
	v_mul_lo_u32 v9, s3, v1
	v_add_u32_e32 v10, v10, v8
	v_mul_lo_u32 v12, s2, v1
	v_add_u32_e32 v13, v10, v9
	v_mul_hi_u32 v8, v1, v12
	v_mul_hi_u32 v11, v1, v13
	v_mul_lo_u32 v10, v1, v13
	v_mov_b32_e32 v9, v4
	v_lshl_add_u64 v[8:9], v[8:9], 0, v[10:11]
	v_mul_hi_u32 v11, v5, v12
	v_mul_lo_u32 v12, v5, v12
	v_add_co_u32_e32 v8, vcc, v8, v12
	v_mul_hi_u32 v10, v5, v13
	s_nop 0
	v_addc_co_u32_e32 v8, vcc, v9, v11, vcc
	v_mov_b32_e32 v9, v4
	s_nop 0
	v_addc_co_u32_e32 v11, vcc, 0, v10, vcc
	v_mul_lo_u32 v10, v5, v13
	v_lshl_add_u64 v[8:9], v[8:9], 0, v[10:11]
	v_add_co_u32_e32 v1, vcc, v1, v8
	v_mul_lo_u32 v10, s2, v1
	s_nop 0
	v_addc_co_u32_e32 v5, vcc, v5, v9, vcc
	v_mul_lo_u32 v8, s2, v5
	v_mul_hi_u32 v9, s2, v1
	v_add_u32_e32 v8, v9, v8
	v_mul_lo_u32 v9, s3, v1
	v_add_u32_e32 v12, v8, v9
	v_mul_hi_u32 v14, v5, v10
	v_mul_lo_u32 v15, v5, v10
	v_mul_hi_u32 v9, v1, v12
	v_mul_lo_u32 v8, v1, v12
	v_mul_hi_u32 v10, v1, v10
	v_mov_b32_e32 v11, v4
	v_lshl_add_u64 v[8:9], v[10:11], 0, v[8:9]
	v_add_co_u32_e32 v8, vcc, v8, v15
	v_mul_hi_u32 v13, v5, v12
	s_nop 0
	v_addc_co_u32_e32 v8, vcc, v9, v14, vcc
	v_mul_lo_u32 v10, v5, v12
	s_nop 0
	v_addc_co_u32_e32 v11, vcc, 0, v13, vcc
	v_mov_b32_e32 v9, v4
	v_lshl_add_u64 v[8:9], v[8:9], 0, v[10:11]
	v_add_co_u32_e32 v1, vcc, v1, v8
	v_mul_hi_u32 v10, v6, v1
	s_nop 0
	v_addc_co_u32_e32 v5, vcc, v5, v9, vcc
	v_mad_u64_u32 v[8:9], s[2:3], v6, v5, 0
	v_mov_b32_e32 v11, v4
	v_lshl_add_u64 v[8:9], v[10:11], 0, v[8:9]
	v_mad_u64_u32 v[12:13], s[2:3], v7, v1, 0
	v_add_co_u32_e32 v1, vcc, v8, v12
	v_mad_u64_u32 v[10:11], s[2:3], v7, v5, 0
	s_nop 0
	v_addc_co_u32_e32 v8, vcc, v9, v13, vcc
	v_mov_b32_e32 v9, v4
	s_nop 0
	v_addc_co_u32_e32 v11, vcc, 0, v11, vcc
	v_lshl_add_u64 v[8:9], v[8:9], 0, v[10:11]
	v_mul_lo_u32 v1, s21, v8
	v_mul_lo_u32 v5, s20, v9
	v_mad_u64_u32 v[10:11], s[2:3], s20, v8, 0
	v_add3_u32 v1, v11, v5, v1
	v_sub_u32_e32 v5, v7, v1
	v_mov_b32_e32 v11, s21
	v_sub_co_u32_e32 v14, vcc, v6, v10
	v_lshl_add_u64 v[12:13], v[8:9], 0, 1
	s_nop 0
	v_subb_co_u32_e64 v5, s[2:3], v5, v11, vcc
	v_subrev_co_u32_e64 v10, s[2:3], s20, v14
	v_subb_co_u32_e32 v1, vcc, v7, v1, vcc
	s_nop 0
	v_subbrev_co_u32_e64 v5, s[2:3], 0, v5, s[2:3]
	v_cmp_le_u32_e64 s[2:3], s21, v5
	v_cmp_le_u32_e32 vcc, s21, v1
	s_nop 0
	v_cndmask_b32_e64 v11, 0, -1, s[2:3]
	v_cmp_le_u32_e64 s[2:3], s20, v10
	s_nop 1
	v_cndmask_b32_e64 v10, 0, -1, s[2:3]
	v_cmp_eq_u32_e64 s[2:3], s21, v5
	s_nop 1
	v_cndmask_b32_e64 v5, v11, v10, s[2:3]
	v_lshl_add_u64 v[10:11], v[8:9], 0, 2
	v_cmp_ne_u32_e64 s[2:3], 0, v5
	s_nop 1
	v_cndmask_b32_e64 v5, v13, v11, s[2:3]
	v_cndmask_b32_e64 v11, 0, -1, vcc
	v_cmp_le_u32_e32 vcc, s20, v14
	s_nop 1
	v_cndmask_b32_e64 v13, 0, -1, vcc
	v_cmp_eq_u32_e32 vcc, s21, v1
	s_nop 1
	v_cndmask_b32_e32 v1, v11, v13, vcc
	v_cmp_ne_u32_e32 vcc, 0, v1
	v_cndmask_b32_e64 v1, v12, v10, s[2:3]
	s_nop 0
	v_cndmask_b32_e32 v9, v9, v5, vcc
	v_cndmask_b32_e32 v8, v8, v1, vcc
.LBB0_4:                                ;   in Loop: Header=BB0_2 Depth=1
	s_andn2_saveexec_b64 s[2:3], s[22:23]
	s_cbranch_execz .LBB0_6
; %bb.5:                                ;   in Loop: Header=BB0_2 Depth=1
	v_cvt_f32_u32_e32 v1, s20
	s_sub_i32 s22, 0, s20
	v_rcp_iflag_f32_e32 v1, v1
	s_nop 0
	v_mul_f32_e32 v1, 0x4f7ffffe, v1
	v_cvt_u32_f32_e32 v1, v1
	v_mul_lo_u32 v5, s22, v1
	v_mul_hi_u32 v5, v1, v5
	v_add_u32_e32 v1, v1, v5
	v_mul_hi_u32 v1, v6, v1
	v_mul_lo_u32 v5, v1, s20
	v_sub_u32_e32 v5, v6, v5
	v_add_u32_e32 v8, 1, v1
	v_subrev_u32_e32 v9, s20, v5
	v_cmp_le_u32_e32 vcc, s20, v5
	s_nop 1
	v_cndmask_b32_e32 v5, v5, v9, vcc
	v_cndmask_b32_e32 v1, v1, v8, vcc
	v_add_u32_e32 v8, 1, v1
	v_cmp_le_u32_e32 vcc, s20, v5
	v_mov_b32_e32 v9, v4
	s_nop 0
	v_cndmask_b32_e32 v8, v1, v8, vcc
.LBB0_6:                                ;   in Loop: Header=BB0_2 Depth=1
	s_or_b64 exec, exec, s[2:3]
	v_mad_u64_u32 v[10:11], s[2:3], v8, s20, 0
	s_load_dwordx2 s[2:3], s[14:15], 0x0
	v_mul_lo_u32 v1, v9, s20
	v_mul_lo_u32 v5, v8, s21
	v_add3_u32 v1, v11, v5, v1
	v_sub_co_u32_e32 v5, vcc, v6, v10
	s_add_u32 s16, s16, 1
	s_nop 0
	v_subb_co_u32_e32 v1, vcc, v7, v1, vcc
	s_addc_u32 s17, s17, 0
	s_waitcnt lgkmcnt(0)
	v_mul_lo_u32 v1, s2, v1
	v_mul_lo_u32 v6, s3, v5
	v_mad_u64_u32 v[2:3], s[2:3], s2, v5, v[2:3]
	s_add_u32 s14, s14, 8
	v_add3_u32 v3, v6, v3, v1
	s_addc_u32 s15, s15, 0
	v_mov_b64_e32 v[6:7], s[6:7]
	s_add_u32 s18, s18, 8
	v_cmp_ge_u64_e32 vcc, s[16:17], v[6:7]
	s_addc_u32 s19, s19, 0
	s_cbranch_vccnz .LBB0_9
; %bb.7:                                ;   in Loop: Header=BB0_2 Depth=1
	v_mov_b64_e32 v[6:7], v[8:9]
	s_branch .LBB0_2
.LBB0_8:
	v_mov_b64_e32 v[8:9], v[6:7]
.LBB0_9:
	s_lshl_b64 s[2:3], s[6:7], 3
	s_add_u32 s2, s12, s2
	s_addc_u32 s3, s13, s3
	s_load_dwordx2 s[6:7], s[2:3], 0x0
	s_load_dwordx2 s[12:13], s[0:1], 0x20
	s_mov_b32 s2, 0x25ed098
                                        ; implicit-def: $vgpr20_vgpr21
                                        ; implicit-def: $vgpr18_vgpr19
                                        ; implicit-def: $vgpr27
	s_waitcnt lgkmcnt(0)
	v_mul_lo_u32 v1, s6, v9
	v_mul_lo_u32 v6, s7, v8
	v_mad_u64_u32 v[4:5], s[0:1], s6, v8, v[2:3]
	v_add3_u32 v5, v6, v5, v1
	v_mul_hi_u32 v1, v0, s2
	v_mul_u32_u24_e32 v1, 0x6c, v1
	v_cmp_gt_u64_e32 vcc, s[12:13], v[8:9]
	v_cmp_le_u64_e64 s[0:1], s[12:13], v[8:9]
	v_sub_u32_e32 v26, v0, v1
                                        ; implicit-def: $vgpr2_vgpr3
                                        ; implicit-def: $vgpr0_vgpr1
	s_and_saveexec_b64 s[2:3], s[0:1]
	s_xor_b64 s[0:1], exec, s[2:3]
; %bb.10:
	v_add_u32_e32 v27, 0x6c, v26
	v_add_u32_e32 v19, 0x144, v26
	;; [unrolled: 1-line block ×9, first 2 shown]
; %bb.11:
	s_or_saveexec_b64 s[0:1], s[0:1]
	v_lshl_add_u64 v[16:17], v[4:5], 2, s[10:11]
                                        ; implicit-def: $vgpr65
                                        ; implicit-def: $vgpr61
                                        ; implicit-def: $vgpr66
                                        ; implicit-def: $vgpr62
                                        ; implicit-def: $vgpr67
                                        ; implicit-def: $vgpr34
                                        ; implicit-def: $vgpr68
                                        ; implicit-def: $vgpr63
                                        ; implicit-def: $vgpr69
                                        ; implicit-def: $vgpr64
                                        ; implicit-def: $vgpr70
                                        ; implicit-def: $vgpr35
                                        ; implicit-def: $vgpr72
                                        ; implicit-def: $vgpr12
                                        ; implicit-def: $vgpr73
                                        ; implicit-def: $vgpr13
                                        ; implicit-def: $vgpr74
                                        ; implicit-def: $vgpr32
                                        ; implicit-def: $vgpr80
                                        ; implicit-def: $vgpr57
                                        ; implicit-def: $vgpr81
                                        ; implicit-def: $vgpr58
                                        ; implicit-def: $vgpr82
                                        ; implicit-def: $vgpr33
                                        ; implicit-def: $vgpr85
                                        ; implicit-def: $vgpr59
                                        ; implicit-def: $vgpr86
                                        ; implicit-def: $vgpr60
                                        ; implicit-def: $vgpr87
                                        ; implicit-def: $vgpr22
                                        ; implicit-def: $vgpr88
                                        ; implicit-def: $vgpr7
                                        ; implicit-def: $vgpr89
                                        ; implicit-def: $vgpr8
                                        ; implicit-def: $vgpr90
                                        ; implicit-def: $vgpr23
                                        ; implicit-def: $vgpr92
                                        ; implicit-def: $vgpr9
                                        ; implicit-def: $vgpr93
                                        ; implicit-def: $vgpr10
                                        ; implicit-def: $vgpr94
                                        ; implicit-def: $vgpr24
                                        ; implicit-def: $vgpr96
                                        ; implicit-def: $vgpr11
                                        ; implicit-def: $vgpr97
                                        ; implicit-def: $vgpr4
                                        ; implicit-def: $vgpr98
                                        ; implicit-def: $vgpr14
                                        ; implicit-def: $vgpr99
                                        ; implicit-def: $vgpr5
                                        ; implicit-def: $vgpr100
                                        ; implicit-def: $vgpr6
                                        ; implicit-def: $vgpr101
                                        ; implicit-def: $vgpr15
                                        ; implicit-def: $vgpr30
                                        ; implicit-def: $vgpr25
                                        ; implicit-def: $vgpr31
                                        ; implicit-def: $vgpr28
                                        ; implicit-def: $vgpr36
                                        ; implicit-def: $vgpr29
	s_xor_b64 exec, exec, s[0:1]
	s_cbranch_execz .LBB0_13
; %bb.12:
	v_mad_u64_u32 v[0:1], s[2:3], s8, v26, 0
	v_mov_b32_e32 v2, v1
	v_mad_u64_u32 v[2:3], s[2:3], s9, v26, v[2:3]
	v_add_u32_e32 v5, 0x438, v26
	v_mov_b32_e32 v1, v2
	v_mad_u64_u32 v[2:3], s[2:3], s8, v5, 0
	v_mov_b32_e32 v4, v3
	v_mad_u64_u32 v[4:5], s[2:3], s9, v5, v[4:5]
	v_add_u32_e32 v7, 0x870, v26
	v_mov_b32_e32 v3, v4
	v_mad_u64_u32 v[4:5], s[2:3], s8, v7, 0
	v_mov_b32_e32 v6, v5
	v_mad_u64_u32 v[6:7], s[2:3], s9, v7, v[6:7]
	v_mov_b32_e32 v5, v6
	v_add_u32_e32 v27, 0x6c, v26
	v_lshl_add_u64 v[8:9], v[4:5], 2, v[16:17]
	v_mad_u64_u32 v[4:5], s[2:3], s8, v27, 0
	v_mov_b32_e32 v6, v5
	v_mad_u64_u32 v[6:7], s[2:3], s9, v27, v[6:7]
	v_mov_b32_e32 v5, v6
	v_add_u32_e32 v7, 0x4a4, v26
	v_lshl_add_u64 v[10:11], v[4:5], 2, v[16:17]
	;; [unrolled: 6-line block ×5, first 2 shown]
	v_mad_u64_u32 v[4:5], s[2:3], s8, v7, 0
	v_mov_b32_e32 v6, v5
	v_mad_u64_u32 v[6:7], s[2:3], s9, v7, v[6:7]
	v_lshl_add_u64 v[0:1], v[0:1], 2, v[16:17]
	v_lshl_add_u64 v[2:3], v[2:3], 2, v[16:17]
	v_mov_b32_e32 v5, v6
	v_lshl_add_u64 v[30:31], v[4:5], 2, v[16:17]
	global_load_dword v29, v[0:1], off
	global_load_dword v28, v[2:3], off
	;; [unrolled: 1-line block ×8, first 2 shown]
	v_add_u32_e32 v3, 0x948, v26
	v_mad_u64_u32 v[0:1], s[2:3], s8, v3, 0
	v_mov_b32_e32 v2, v1
	v_add_u32_e32 v19, 0x144, v26
	v_mad_u64_u32 v[2:3], s[2:3], s9, v3, v[2:3]
	v_mov_b32_e32 v1, v2
	v_mad_u64_u32 v[2:3], s[2:3], s8, v19, 0
	v_mov_b32_e32 v8, v3
	v_mad_u64_u32 v[8:9], s[2:3], s9, v19, v[8:9]
	v_add_u32_e32 v7, 0x57c, v26
	v_mov_b32_e32 v3, v8
	v_mad_u64_u32 v[8:9], s[2:3], s8, v7, 0
	v_mov_b32_e32 v10, v9
	v_mad_u64_u32 v[10:11], s[2:3], s9, v7, v[10:11]
	v_mov_b32_e32 v9, v10
	v_add_u32_e32 v7, 0x9b4, v26
	v_lshl_add_u64 v[12:13], v[8:9], 2, v[16:17]
	v_mad_u64_u32 v[8:9], s[2:3], s8, v7, 0
	v_mov_b32_e32 v10, v9
	v_mad_u64_u32 v[10:11], s[2:3], s9, v7, v[10:11]
	v_mov_b32_e32 v9, v10
	v_add_u32_e32 v21, 0x1b0, v26
	v_lshl_add_u64 v[30:31], v[8:9], 2, v[16:17]
	v_mad_u64_u32 v[8:9], s[2:3], s8, v21, 0
	v_mov_b32_e32 v10, v9
	v_mad_u64_u32 v[10:11], s[2:3], s9, v21, v[10:11]
	v_mov_b32_e32 v9, v10
	v_add_u32_e32 v7, 0x5e8, v26
	v_lshl_add_u64 v[32:33], v[8:9], 2, v[16:17]
	v_mad_u64_u32 v[8:9], s[2:3], s8, v7, 0
	v_mov_b32_e32 v10, v9
	v_mad_u64_u32 v[10:11], s[2:3], s9, v7, v[10:11]
	v_mov_b32_e32 v9, v10
	v_add_u32_e32 v7, 0xa20, v26
	v_lshl_add_u64 v[34:35], v[8:9], 2, v[16:17]
	v_mad_u64_u32 v[8:9], s[2:3], s8, v7, 0
	v_mov_b32_e32 v10, v9
	v_mad_u64_u32 v[10:11], s[2:3], s9, v7, v[10:11]
	v_add_u32_e32 v20, 0x21c, v26
	v_mov_b32_e32 v9, v10
	v_lshl_add_u64 v[36:37], v[8:9], 2, v[16:17]
	v_mad_u64_u32 v[8:9], s[2:3], s8, v20, 0
	v_mov_b32_e32 v10, v9
	v_mad_u64_u32 v[10:11], s[2:3], s9, v20, v[10:11]
	v_lshl_add_u64 v[0:1], v[0:1], 2, v[16:17]
	v_lshl_add_u64 v[2:3], v[2:3], 2, v[16:17]
	v_mov_b32_e32 v9, v10
	v_lshl_add_u64 v[38:39], v[8:9], 2, v[16:17]
	global_load_dword v11, v[0:1], off
	global_load_dword v24, v[2:3], off
	;; [unrolled: 1-line block ×8, first 2 shown]
	v_add_u32_e32 v3, 0x654, v26
	v_mad_u64_u32 v[0:1], s[2:3], s8, v3, 0
	v_mov_b32_e32 v2, v1
	v_mad_u64_u32 v[2:3], s[2:3], s9, v3, v[2:3]
	v_mov_b32_e32 v1, v2
	v_add_u32_e32 v13, 0xa8c, v26
	v_lshl_add_u64 v[2:3], v[0:1], 2, v[16:17]
	v_mad_u64_u32 v[0:1], s[2:3], s8, v13, 0
	v_mov_b32_e32 v12, v1
	v_mad_u64_u32 v[12:13], s[2:3], s9, v13, v[12:13]
	v_mov_b32_e32 v1, v12
	v_lshl_add_u64 v[30:31], v[0:1], 2, v[16:17]
	v_add_u32_e32 v0, 0x288, v26
	v_mad_u64_u32 v[12:13], s[2:3], s8, v0, 0
	v_mov_b32_e32 v32, v13
	v_mad_u64_u32 v[32:33], s[2:3], s9, v0, v[32:33]
	v_mov_b32_e32 v13, v32
	v_add_u32_e32 v33, 0x6c0, v26
	v_lshl_add_u64 v[34:35], v[12:13], 2, v[16:17]
	v_mad_u64_u32 v[12:13], s[2:3], s8, v33, 0
	v_mov_b32_e32 v32, v13
	v_mad_u64_u32 v[32:33], s[2:3], s9, v33, v[32:33]
	v_mov_b32_e32 v13, v32
	v_add_u32_e32 v33, 0xaf8, v26
	v_lshl_add_u64 v[36:37], v[12:13], 2, v[16:17]
	v_mad_u64_u32 v[12:13], s[2:3], s8, v33, 0
	v_mov_b32_e32 v32, v13
	v_mad_u64_u32 v[32:33], s[2:3], s9, v33, v[32:33]
	v_add_u32_e32 v1, 0x2f4, v26
	v_mov_b32_e32 v13, v32
	v_lshl_add_u64 v[38:39], v[12:13], 2, v[16:17]
	v_mad_u64_u32 v[12:13], s[2:3], s8, v1, 0
	v_mov_b32_e32 v32, v13
	v_mad_u64_u32 v[32:33], s[2:3], s9, v1, v[32:33]
	v_mov_b32_e32 v13, v32
	v_add_u32_e32 v33, 0x72c, v26
	v_lshl_add_u64 v[40:41], v[12:13], 2, v[16:17]
	v_mad_u64_u32 v[12:13], s[2:3], s8, v33, 0
	v_mov_b32_e32 v32, v13
	v_mad_u64_u32 v[32:33], s[2:3], s9, v33, v[32:33]
	v_mov_b32_e32 v13, v32
	v_add_u32_e32 v33, 0xb64, v26
	v_lshl_add_u64 v[42:43], v[12:13], 2, v[16:17]
	v_mad_u64_u32 v[12:13], s[2:3], s8, v33, 0
	v_mov_b32_e32 v32, v13
	v_mad_u64_u32 v[32:33], s[2:3], s9, v33, v[32:33]
	v_mov_b32_e32 v13, v32
	v_lshl_add_u64 v[44:45], v[12:13], 2, v[16:17]
	global_load_dword v60, v[2:3], off
	global_load_dword v59, v[30:31], off
	;; [unrolled: 1-line block ×8, first 2 shown]
	v_add_u32_e32 v2, 0x360, v26
	v_mad_u64_u32 v[30:31], s[2:3], s8, v2, 0
	v_mov_b32_e32 v34, v31
	v_mad_u64_u32 v[34:35], s[2:3], s9, v2, v[34:35]
	v_add_u32_e32 v37, 0x798, v26
	v_mov_b32_e32 v31, v34
	v_mad_u64_u32 v[34:35], s[2:3], s8, v37, 0
	v_mov_b32_e32 v36, v35
	v_mad_u64_u32 v[36:37], s[2:3], s9, v37, v[36:37]
	v_mov_b32_e32 v35, v36
	v_add_u32_e32 v39, 0xbd0, v26
	v_lshl_add_u64 v[36:37], v[34:35], 2, v[16:17]
	v_mad_u64_u32 v[34:35], s[2:3], s8, v39, 0
	v_mov_b32_e32 v38, v35
	v_mad_u64_u32 v[38:39], s[2:3], s9, v39, v[38:39]
	v_add_u32_e32 v3, 0x3cc, v26
	v_mov_b32_e32 v35, v38
	v_lshl_add_u64 v[38:39], v[34:35], 2, v[16:17]
	v_mad_u64_u32 v[34:35], s[2:3], s8, v3, 0
	v_mov_b32_e32 v40, v35
	v_mad_u64_u32 v[40:41], s[2:3], s9, v3, v[40:41]
	v_mov_b32_e32 v35, v40
	v_add_u32_e32 v43, 0x804, v26
	v_lshl_add_u64 v[40:41], v[34:35], 2, v[16:17]
	v_mad_u64_u32 v[34:35], s[2:3], s8, v43, 0
	v_mov_b32_e32 v42, v35
	v_mad_u64_u32 v[42:43], s[2:3], s9, v43, v[42:43]
	v_mov_b32_e32 v35, v42
	v_add_u32_e32 v45, 0xc3c, v26
	v_lshl_add_u64 v[42:43], v[34:35], 2, v[16:17]
	v_mad_u64_u32 v[34:35], s[2:3], s8, v45, 0
	v_mov_b32_e32 v44, v35
	v_mad_u64_u32 v[44:45], s[2:3], s9, v45, v[44:45]
	v_lshl_add_u64 v[30:31], v[30:31], 2, v[16:17]
	v_mov_b32_e32 v35, v44
	v_lshl_add_u64 v[44:45], v[34:35], 2, v[16:17]
	global_load_dword v35, v[30:31], off
	global_load_dword v64, v[36:37], off
	;; [unrolled: 1-line block ×6, first 2 shown]
	s_waitcnt vmcnt(29)
	v_lshrrev_b32_e32 v36, 16, v29
	s_waitcnt vmcnt(28)
	v_lshrrev_b32_e32 v31, 16, v28
	;; [unrolled: 2-line block ×30, first 2 shown]
.LBB0_13:
	s_or_b64 exec, exec, s[0:1]
	v_add_f16_e32 v37, v25, v28
	v_fma_f16 v37, v37, -0.5, v29
	s_movk_i32 s2, 0x3aee
	s_mov_b32 s3, 0xbaee
	v_sub_f16_e32 v38, v31, v30
	v_fma_f16 v39, v38, s2, v37
	v_fma_f16 v37, v38, s3, v37
	v_add_f16_e32 v38, v31, v36
	v_add_f16_e32 v102, v30, v38
	;; [unrolled: 1-line block ×4, first 2 shown]
	v_fma_f16 v30, v30, -0.5, v36
	v_add_f16_e32 v29, v25, v29
	v_sub_f16_e32 v25, v28, v25
	v_fma_f16 v103, v25, s3, v30
	v_fma_f16 v104, v25, s2, v30
	v_add_f16_e32 v25, v5, v6
	v_fma_f16 v25, v25, -0.5, v15
	v_sub_f16_e32 v28, v100, v99
	v_fma_f16 v30, v28, s2, v25
	v_fma_f16 v25, v28, s3, v25
	v_add_f16_e32 v28, v11, v4
	v_fma_f16 v28, v28, -0.5, v14
	v_add_f16_e32 v15, v6, v15
	v_add_f16_e32 v14, v4, v14
	v_sub_f16_e32 v31, v97, v96
	v_mad_u32_u24 v105, v26, 6, 0
	v_add_f16_e32 v15, v5, v15
	v_mad_i32_i24 v106, v27, 6, 0
	v_add_f16_e32 v14, v11, v14
	v_mad_i32_i24 v107, v18, 6, 0
	v_fma_f16 v36, v31, s2, v28
	v_fma_f16 v28, v31, s3, v28
	v_add_f16_e32 v31, v9, v10
	ds_write_b16 v105, v29
	ds_write_b16 v105, v39 offset:2
	ds_write_b16 v105, v37 offset:4
	ds_write_b16 v106, v15
	ds_write_b16 v106, v30 offset:2
	ds_write_b16 v106, v25 offset:4
	;; [unrolled: 3-line block ×3, first 2 shown]
	v_add_f16_e32 v14, v10, v24
	v_fma_f16 v31, v31, -0.5, v24
	v_sub_f16_e32 v38, v93, v92
	v_add_f16_e32 v14, v9, v14
	v_mad_i32_i24 v30, v19, 6, 0
	v_fma_f16 v40, v38, s2, v31
	v_fma_f16 v31, v38, s3, v31
	v_add_f16_e32 v38, v7, v8
	ds_write_b16 v30, v14
	ds_write_b16 v30, v40 offset:2
	ds_write_b16 v30, v31 offset:4
	v_add_f16_e32 v14, v8, v23
	v_fma_f16 v38, v38, -0.5, v23
	v_sub_f16_e32 v41, v89, v88
	v_add_f16_e32 v14, v7, v14
	v_mad_i32_i24 v31, v21, 6, 0
	v_fma_f16 v42, v41, s2, v38
	v_fma_f16 v38, v41, s3, v38
	v_add_f16_e32 v41, v59, v60
	ds_write_b16 v31, v14
	ds_write_b16 v31, v42 offset:2
	ds_write_b16 v31, v38 offset:4
	;; [unrolled: 11-line block ×6, first 2 shown]
	v_add_f16_e32 v14, v62, v34
	v_fma_f16 v49, v49, -0.5, v34
	v_sub_f16_e32 v51, v66, v65
	v_add_f16_e32 v14, v61, v14
	v_mad_i32_i24 v111, v3, 6, 0
	v_fma_f16 v52, v51, s2, v49
	v_fma_f16 v49, v51, s3, v49
	ds_write_b16 v111, v14
	ds_write_b16 v111, v52 offset:2
	ds_write_b16 v111, v49 offset:4
	v_lshlrev_b32_e32 v14, 2, v0
	v_sub_u32_e32 v43, v108, v14
	v_lshlrev_b32_e32 v14, 2, v1
	v_sub_u32_e32 v41, v109, v14
	v_lshlrev_b32_e32 v14, 2, v2
	v_lshlrev_b32_e32 v34, 2, v19
	v_sub_u32_e32 v42, v110, v14
	v_lshlrev_b32_e32 v14, 2, v3
	v_lshl_add_u32 v29, v26, 1, 0
	v_sub_u32_e32 v37, v30, v34
	v_lshlrev_b32_e32 v35, 2, v21
	v_lshlrev_b32_e32 v36, 2, v20
	s_waitcnt lgkmcnt(0)
	s_barrier
	v_sub_u32_e32 v44, v111, v14
	v_lshl_add_u32 v32, v27, 1, 0
	v_lshl_add_u32 v33, v18, 1, 0
	ds_read_u16 v24, v37
	v_sub_u32_e32 v38, v31, v35
	ds_read_u16 v78, v29 offset:4752
	ds_read_u16 v76, v29 offset:4968
	;; [unrolled: 1-line block ×3, first 2 shown]
	v_sub_u32_e32 v39, v28, v36
	ds_read_u16 v47, v29
	ds_read_u16 v112, v29 offset:2160
	ds_read_u16 v84, v29 offset:2376
	;; [unrolled: 1-line block ×13, first 2 shown]
	ds_read_u16 v40, v38
	ds_read_u16 v25, v39
	;; [unrolled: 1-line block ×6, first 2 shown]
	ds_read_u16 v91, v29 offset:4536
	ds_read_u16 v95, v29 offset:4320
	;; [unrolled: 1-line block ×3, first 2 shown]
	ds_read_u16 v45, v33
	ds_read_u16 v46, v32
	ds_read_u16 v50, v29 offset:6264
	s_waitcnt lgkmcnt(0)
	s_barrier
	ds_write_b16 v105, v102
	ds_write_b16 v105, v103 offset:2
	ds_write_b16 v105, v104 offset:4
	v_add_f16_e32 v102, v100, v101
	v_add_f16_e32 v102, v99, v102
	;; [unrolled: 1-line block ×3, first 2 shown]
	v_fma_f16 v99, v99, -0.5, v101
	v_sub_f16_e32 v5, v6, v5
	v_fma_f16 v6, v5, s3, v99
	v_fma_f16 v5, v5, s2, v99
	ds_write_b16 v106, v102
	ds_write_b16 v106, v6 offset:2
	ds_write_b16 v106, v5 offset:4
	v_add_f16_e32 v6, v96, v97
	v_add_f16_e32 v5, v97, v98
	v_fma_f16 v6, v6, -0.5, v98
	v_sub_f16_e32 v4, v4, v11
	v_add_f16_e32 v5, v96, v5
	v_fma_f16 v11, v4, s3, v6
	v_fma_f16 v4, v4, s2, v6
	ds_write_b16 v107, v5
	ds_write_b16 v107, v11 offset:2
	ds_write_b16 v107, v4 offset:4
	v_add_f16_e32 v11, v85, v86
	v_fma_f16 v11, v11, -0.5, v87
	v_sub_f16_e32 v59, v60, v59
	v_add_f16_e32 v5, v92, v93
	v_sub_f16_e32 v6, v10, v9
	v_add_f16_e32 v10, v88, v89
	v_fma_f16 v60, v59, s3, v11
	v_fma_f16 v11, v59, s2, v11
	v_add_f16_e32 v59, v81, v82
	v_add_f16_e32 v4, v93, v94
	v_fma_f16 v5, v5, -0.5, v94
	v_fma_f16 v10, v10, -0.5, v90
	v_sub_f16_e32 v7, v8, v7
	v_add_f16_e32 v59, v80, v59
	v_add_f16_e32 v80, v80, v81
	;; [unrolled: 1-line block ×3, first 2 shown]
	v_fma_f16 v9, v6, s3, v5
	v_fma_f16 v5, v6, s2, v5
	v_add_f16_e32 v6, v89, v90
	v_fma_f16 v8, v7, s3, v10
	v_fma_f16 v7, v7, s2, v10
	v_add_f16_e32 v10, v86, v87
	v_fma_f16 v80, v80, -0.5, v82
	v_sub_f16_e32 v57, v58, v57
	v_add_f16_e32 v6, v88, v6
	v_add_f16_e32 v10, v85, v10
	v_fma_f16 v58, v57, s3, v80
	v_fma_f16 v57, v57, s2, v80
	ds_write_b16 v30, v4
	ds_write_b16 v30, v9 offset:2
	ds_write_b16 v30, v5 offset:4
	ds_write_b16 v31, v6
	ds_write_b16 v31, v8 offset:2
	ds_write_b16 v31, v7 offset:4
	;; [unrolled: 3-line block ×4, first 2 shown]
	v_add_f16_e32 v5, v72, v73
	v_add_f16_e32 v8, v68, v69
	;; [unrolled: 1-line block ×3, first 2 shown]
	v_fma_f16 v5, v5, -0.5, v74
	v_sub_f16_e32 v6, v13, v12
	v_fma_f16 v8, v8, -0.5, v70
	v_sub_f16_e32 v9, v64, v63
	v_add_f16_e32 v11, v65, v66
	v_add_f16_e32 v4, v72, v4
	v_fma_f16 v7, v6, s3, v5
	v_fma_f16 v5, v6, s2, v5
	v_add_f16_e32 v6, v69, v70
	v_fma_f16 v10, v9, s3, v8
	v_fma_f16 v8, v9, s2, v8
	v_add_f16_e32 v9, v66, v67
	v_fma_f16 v11, v11, -0.5, v67
	v_sub_f16_e32 v12, v62, v61
	s_movk_i32 s0, 0xab
	v_add_f16_e32 v6, v68, v6
	v_add_f16_e32 v9, v65, v9
	v_fma_f16 v13, v12, s3, v11
	v_fma_f16 v11, v12, s2, v11
	ds_write_b16 v109, v4
	ds_write_b16 v109, v7 offset:2
	ds_write_b16 v109, v5 offset:4
	ds_write_b16 v110, v6
	ds_write_b16 v110, v10 offset:2
	ds_write_b16 v110, v8 offset:4
	;; [unrolled: 3-line block ×3, first 2 shown]
	v_mul_lo_u16_sdwa v4, v26, s0 dst_sel:DWORD dst_unused:UNUSED_PAD src0_sel:BYTE_0 src1_sel:DWORD
	v_lshrrev_b16_e32 v57, 9, v4
	v_mul_lo_u16_e32 v4, 3, v57
	v_sub_u16_e32 v59, v26, v4
	v_mov_b32_e32 v4, 3
	v_lshlrev_b32_sdwa v5, v4, v59 dst_sel:DWORD dst_unused:UNUSED_PAD src0_sel:DWORD src1_sel:BYTE_0
	s_waitcnt lgkmcnt(0)
	s_barrier
	global_load_dwordx2 v[6:7], v5, s[4:5]
	v_mul_lo_u16_sdwa v5, v27, s0 dst_sel:DWORD dst_unused:UNUSED_PAD src0_sel:BYTE_0 src1_sel:DWORD
	v_lshrrev_b16_e32 v58, 9, v5
	v_mul_lo_u16_e32 v5, 3, v58
	v_sub_u16_e32 v60, v27, v5
	v_lshlrev_b32_sdwa v4, v4, v60 dst_sel:DWORD dst_unused:UNUSED_PAD src0_sel:DWORD src1_sel:BYTE_0
	s_mov_b32 s0, 0xaaab
	global_load_dwordx2 v[8:9], v4, s[4:5]
	v_mul_u32_u24_sdwa v4, v18, s0 dst_sel:DWORD dst_unused:UNUSED_PAD src0_sel:WORD_0 src1_sel:DWORD
	v_lshrrev_b32_e32 v61, 17, v4
	v_mul_lo_u16_e32 v4, 3, v61
	v_sub_u16_e32 v62, v18, v4
	v_lshlrev_b32_e32 v4, 3, v62
	global_load_dwordx2 v[12:13], v4, s[4:5]
	v_mul_u32_u24_sdwa v4, v19, s0 dst_sel:DWORD dst_unused:UNUSED_PAD src0_sel:WORD_0 src1_sel:DWORD
	v_lshrrev_b32_e32 v64, 17, v4
	v_mul_lo_u16_e32 v4, 3, v64
	v_sub_u16_e32 v63, v19, v4
	v_lshlrev_b32_e32 v4, 3, v63
	;; [unrolled: 6-line block ×4, first 2 shown]
	global_load_dwordx2 v[4:5], v4, s[4:5]
	ds_read_u16 v20, v29 offset:2160
	ds_read_u16 v69, v29 offset:2376
	ds_read_u16 v70, v29 offset:2592
	ds_read_u16 v74, v29 offset:2808
	ds_read_u16 v82, v29 offset:3024
	ds_read_u16 v85, v29 offset:3240
	ds_read_u16 v88, v29 offset:3456
	ds_read_u16 v89, v29
	v_mul_u32_u24_e32 v57, 18, v57
	s_movk_i32 s10, 0x3b9c
	s_mov_b32 s1, 0xbb9c
	s_movk_i32 s7, 0x38b4
	s_mov_b32 s6, 0xb8b4
	s_movk_i32 s11, 0x3a79
	s_waitcnt vmcnt(5) lgkmcnt(7)
	v_mul_f16_sdwa v80, v20, v6 dst_sel:DWORD dst_unused:UNUSED_PAD src0_sel:DWORD src1_sel:WORD_1
	v_mul_f16_sdwa v86, v112, v6 dst_sel:DWORD dst_unused:UNUSED_PAD src0_sel:DWORD src1_sel:WORD_1
	v_fma_f16 v90, v112, v6, -v80
	v_mul_u32_u24_sdwa v80, v0, s0 dst_sel:DWORD dst_unused:UNUSED_PAD src0_sel:WORD_0 src1_sel:DWORD
	v_fma_f16 v6, v20, v6, v86
	v_mul_u32_u24_sdwa v20, v2, s0 dst_sel:DWORD dst_unused:UNUSED_PAD src0_sel:WORD_0 src1_sel:DWORD
	v_lshrrev_b32_e32 v92, 17, v80
	v_lshrrev_b32_e32 v97, 17, v20
	v_mul_lo_u16_e32 v80, 3, v92
	v_mul_lo_u16_e32 v20, 3, v97
	v_sub_u16_e32 v93, v0, v80
	v_sub_u16_e32 v98, v2, v20
	v_lshlrev_b32_e32 v0, 3, v93
	v_lshlrev_b32_e32 v2, 3, v98
	global_load_dwordx2 v[80:81], v0, s[4:5]
	global_load_dwordx2 v[86:87], v2, s[4:5]
	v_mul_u32_u24_sdwa v0, v1, s0 dst_sel:DWORD dst_unused:UNUSED_PAD src0_sel:WORD_0 src1_sel:DWORD
	v_lshrrev_b32_e32 v94, 17, v0
	v_mul_lo_u16_e32 v0, 3, v94
	v_sub_u16_e32 v96, v1, v0
	v_lshlrev_b32_e32 v0, 3, v96
	global_load_dwordx2 v[0:1], v0, s[4:5]
	v_mul_u32_u24_sdwa v2, v3, s0 dst_sel:DWORD dst_unused:UNUSED_PAD src0_sel:WORD_0 src1_sel:DWORD
	v_lshrrev_b32_e32 v103, 17, v2
	v_mul_lo_u16_e32 v2, 3, v103
	v_sub_u16_e32 v104, v3, v2
	v_lshlrev_b32_e32 v2, 3, v104
	ds_read_u16 v20, v29 offset:4320
	ds_read_u16 v99, v29 offset:4536
	;; [unrolled: 1-line block ×5, first 2 shown]
	global_load_dwordx2 v[2:3], v2, s[4:5]
	s_waitcnt lgkmcnt(4)
	v_mul_f16_sdwa v108, v20, v7 dst_sel:DWORD dst_unused:UNUSED_PAD src0_sel:DWORD src1_sel:WORD_1
	v_fma_f16 v108, v95, v7, -v108
	v_mul_f16_sdwa v95, v95, v7 dst_sel:DWORD dst_unused:UNUSED_PAD src0_sel:DWORD src1_sel:WORD_1
	v_fma_f16 v7, v20, v7, v95
	s_waitcnt vmcnt(8)
	v_mul_f16_sdwa v20, v69, v8 dst_sel:DWORD dst_unused:UNUSED_PAD src0_sel:DWORD src1_sel:WORD_1
	v_fma_f16 v95, v84, v8, -v20
	v_mul_f16_sdwa v20, v84, v8 dst_sel:DWORD dst_unused:UNUSED_PAD src0_sel:DWORD src1_sel:WORD_1
	v_fma_f16 v8, v69, v8, v20
	s_waitcnt lgkmcnt(3)
	v_mul_f16_sdwa v20, v99, v9 dst_sel:DWORD dst_unused:UNUSED_PAD src0_sel:DWORD src1_sel:WORD_1
	v_fma_f16 v84, v91, v9, -v20
	v_mul_f16_sdwa v20, v91, v9 dst_sel:DWORD dst_unused:UNUSED_PAD src0_sel:DWORD src1_sel:WORD_1
	v_fma_f16 v9, v99, v9, v20
	s_waitcnt vmcnt(7)
	v_mul_f16_sdwa v20, v70, v12 dst_sel:DWORD dst_unused:UNUSED_PAD src0_sel:DWORD src1_sel:WORD_1
	v_fma_f16 v91, v83, v12, -v20
	v_mul_f16_sdwa v20, v83, v12 dst_sel:DWORD dst_unused:UNUSED_PAD src0_sel:DWORD src1_sel:WORD_1
	v_fma_f16 v12, v70, v12, v20
	;; [unrolled: 10-line block ×4, first 2 shown]
	s_waitcnt lgkmcnt(0)
	v_mul_f16_sdwa v20, v102, v73 dst_sel:DWORD dst_unused:UNUSED_PAD src0_sel:DWORD src1_sel:WORD_1
	v_fma_f16 v77, v71, v73, -v20
	v_mul_f16_sdwa v20, v71, v73 dst_sel:DWORD dst_unused:UNUSED_PAD src0_sel:DWORD src1_sel:WORD_1
	v_fma_f16 v73, v102, v73, v20
	s_waitcnt vmcnt(4)
	v_mul_f16_sdwa v20, v85, v4 dst_sel:DWORD dst_unused:UNUSED_PAD src0_sel:DWORD src1_sel:WORD_1
	v_fma_f16 v79, v75, v4, -v20
	v_mul_f16_sdwa v20, v75, v4 dst_sel:DWORD dst_unused:UNUSED_PAD src0_sel:DWORD src1_sel:WORD_1
	ds_read_u16 v105, v29 offset:3672
	ds_read_u16 v106, v29 offset:3888
	;; [unrolled: 1-line block ×3, first 2 shown]
	v_fma_f16 v4, v85, v4, v20
	ds_read_u16 v20, v29 offset:5400
	ds_read_u16 v69, v29 offset:5616
	;; [unrolled: 1-line block ×5, first 2 shown]
	ds_read_u16 v82, v37
	ds_read_u16 v85, v33
	;; [unrolled: 1-line block ×3, first 2 shown]
	s_waitcnt lgkmcnt(7)
	v_mul_f16_sdwa v100, v20, v5 dst_sel:DWORD dst_unused:UNUSED_PAD src0_sel:DWORD src1_sel:WORD_1
	v_fma_f16 v100, v56, v5, -v100
	v_mul_f16_sdwa v56, v56, v5 dst_sel:DWORD dst_unused:UNUSED_PAD src0_sel:DWORD src1_sel:WORD_1
	v_fma_f16 v5, v20, v5, v56
	ds_read_u16 v117, v38
	ds_read_u16 v118, v39
	;; [unrolled: 1-line block ×6, first 2 shown]
	s_waitcnt lgkmcnt(0)
	s_barrier
	v_mul_u32_u24_e32 v42, 18, v58
	s_mov_b32 s0, 0x5040100
	s_waitcnt vmcnt(3)
	v_mul_f16_sdwa v20, v88, v80 dst_sel:DWORD dst_unused:UNUSED_PAD src0_sel:DWORD src1_sel:WORD_1
	v_fma_f16 v101, v54, v80, -v20
	v_mul_f16_sdwa v20, v54, v80 dst_sel:DWORD dst_unused:UNUSED_PAD src0_sel:DWORD src1_sel:WORD_1
	v_fma_f16 v80, v88, v80, v20
	v_mul_f16_sdwa v20, v69, v81 dst_sel:DWORD dst_unused:UNUSED_PAD src0_sel:DWORD src1_sel:WORD_1
	v_fma_f16 v88, v55, v81, -v20
	v_mul_f16_sdwa v20, v55, v81 dst_sel:DWORD dst_unused:UNUSED_PAD src0_sel:DWORD src1_sel:WORD_1
	v_fma_f16 v81, v69, v81, v20
	s_waitcnt vmcnt(1)
	v_mul_f16_sdwa v20, v105, v0 dst_sel:DWORD dst_unused:UNUSED_PAD src0_sel:DWORD src1_sel:WORD_1
	v_fma_f16 v102, v52, v0, -v20
	v_mul_f16_sdwa v20, v52, v0 dst_sel:DWORD dst_unused:UNUSED_PAD src0_sel:DWORD src1_sel:WORD_1
	v_fma_f16 v0, v105, v0, v20
	v_mul_f16_sdwa v20, v70, v1 dst_sel:DWORD dst_unused:UNUSED_PAD src0_sel:DWORD src1_sel:WORD_1
	v_fma_f16 v105, v53, v1, -v20
	v_mul_f16_sdwa v20, v53, v1 dst_sel:DWORD dst_unused:UNUSED_PAD src0_sel:DWORD src1_sel:WORD_1
	v_fma_f16 v1, v70, v1, v20
	;; [unrolled: 4-line block ×4, first 2 shown]
	s_waitcnt vmcnt(0)
	v_mul_f16_sdwa v20, v107, v2 dst_sel:DWORD dst_unused:UNUSED_PAD src0_sel:DWORD src1_sel:WORD_1
	v_fma_f16 v110, v51, v2, -v20
	v_mul_f16_sdwa v20, v51, v2 dst_sel:DWORD dst_unused:UNUSED_PAD src0_sel:DWORD src1_sel:WORD_1
	v_fma_f16 v2, v107, v2, v20
	v_mul_f16_sdwa v20, v75, v3 dst_sel:DWORD dst_unused:UNUSED_PAD src0_sel:DWORD src1_sel:WORD_1
	v_fma_f16 v107, v50, v3, -v20
	v_mul_f16_sdwa v20, v50, v3 dst_sel:DWORD dst_unused:UNUSED_PAD src0_sel:DWORD src1_sel:WORD_1
	v_fma_f16 v3, v75, v3, v20
	v_add_f16_e32 v20, v90, v108
	v_fma_f16 v20, v20, -0.5, v47
	v_sub_f16_e32 v48, v6, v7
	v_fma_f16 v49, v48, s2, v20
	v_fma_f16 v48, v48, s3, v20
	v_add_f16_e32 v20, v89, v6
	v_add_f16_e32 v6, v6, v7
	;; [unrolled: 1-line block ×3, first 2 shown]
	v_fma_f16 v6, v6, -0.5, v89
	v_sub_f16_e32 v20, v90, v108
	v_fma_f16 v89, v20, s3, v6
	v_fma_f16 v6, v20, s2, v6
	v_add_f16_e32 v20, v95, v84
	v_add_f16_e32 v7, v47, v90
	v_fma_f16 v20, v20, -0.5, v46
	v_sub_f16_e32 v47, v8, v9
	v_fma_f16 v50, v47, s2, v20
	v_fma_f16 v47, v47, s3, v20
	v_add_f16_e32 v20, v91, v83
	v_fma_f16 v20, v20, -0.5, v45
	v_sub_f16_e32 v51, v12, v13
	v_fma_f16 v52, v51, s2, v20
	v_fma_f16 v51, v51, s3, v20
	;; [unrolled: 5-line block ×6, first 2 shown]
	v_add_f16_e32 v20, v102, v105
	v_add_f16_e32 v7, v7, v108
	v_fma_f16 v20, v20, -0.5, v22
	v_sub_f16_e32 v108, v0, v1
	v_fma_f16 v111, v108, s2, v20
	v_fma_f16 v108, v108, s3, v20
	v_add_f16_e32 v20, v109, v106
	v_fma_f16 v20, v20, -0.5, v15
	v_sub_f16_e32 v112, v86, v87
	v_fma_f16 v113, v112, s2, v20
	v_fma_f16 v112, v112, s3, v20
	;; [unrolled: 5-line block ×3, first 2 shown]
	v_mov_b32_e32 v20, 1
	v_lshlrev_b32_sdwa v59, v20, v59 dst_sel:DWORD dst_unused:UNUSED_PAD src0_sel:DWORD src1_sel:BYTE_0
	v_add3_u32 v116, 0, v57, v59
	ds_write_b16 v116, v7
	ds_write_b16 v116, v49 offset:6
	ds_write_b16 v116, v48 offset:12
	v_lshlrev_b32_sdwa v7, v20, v60 dst_sel:DWORD dst_unused:UNUSED_PAD src0_sel:DWORD src1_sel:BYTE_0
	v_add3_u32 v7, 0, v42, v7
	v_add_f16_e32 v42, v46, v95
	v_add_f16_e32 v42, v42, v84
	ds_write_b16 v7, v42
	ds_write_b16 v7, v50 offset:6
	ds_write_b16 v7, v47 offset:12
	v_perm_b32 v42, v64, v61, s0
	v_pk_mul_lo_u16 v42, v42, 18 op_sel_hi:[1,0]
	v_lshlrev_b32_e32 v46, 1, v62
	v_and_b32_e32 v47, 0xfffe, v42
	v_add_f16_e32 v45, v45, v91
	v_add3_u32 v122, 0, v47, v46
	v_add_f16_e32 v45, v45, v83
	ds_write_b16 v122, v45
	ds_write_b16 v122, v52 offset:6
	ds_write_b16 v122, v51 offset:12
	v_lshlrev_b32_e32 v45, 1, v63
	v_lshrrev_b32_e32 v42, 16, v42
	v_add_f16_e32 v24, v24, v78
	v_add3_u32 v123, 0, v42, v45
	v_add_f16_e32 v24, v24, v74
	ds_write_b16 v123, v24
	ds_write_b16 v123, v54 offset:6
	ds_write_b16 v123, v53 offset:12
	v_perm_b32 v24, v65, v68, s0
	v_pk_mul_lo_u16 v24, v24, 18 op_sel_hi:[1,0]
	v_lshlrev_b32_e32 v42, 1, v66
	v_lshrrev_b32_e32 v45, 16, v24
	v_add_f16_e32 v40, v40, v76
	v_add3_u32 v124, 0, v45, v42
	v_add_f16_e32 v40, v40, v77
	ds_write_b16 v124, v40
	ds_write_b16 v124, v56 offset:6
	ds_write_b16 v124, v55 offset:12
	v_lshlrev_b32_e32 v40, 1, v67
	v_and_b32_e32 v24, 0xfffe, v24
	v_add_f16_e32 v25, v25, v79
	v_add3_u32 v24, 0, v24, v40
	v_add_f16_e32 v25, v25, v100
	ds_write_b16 v24, v25
	ds_write_b16 v24, v70 offset:6
	ds_write_b16 v24, v69 offset:12
	v_perm_b32 v25, v94, v92, s0
	v_pk_mul_lo_u16 v25, v25, 18 op_sel_hi:[1,0]
	v_lshlrev_b32_e32 v40, 1, v93
	v_and_b32_e32 v42, 0xfffe, v25
	v_add_f16_e32 v23, v23, v101
	v_add3_u32 v40, 0, v42, v40
	v_add_f16_e32 v23, v23, v88
	ds_write_b16 v40, v23
	ds_write_b16 v40, v90 offset:6
	ds_write_b16 v40, v71 offset:12
	v_lshlrev_b32_e32 v23, 1, v96
	v_lshrrev_b32_e32 v25, 16, v25
	v_add_f16_e32 v22, v22, v102
	v_add3_u32 v25, 0, v25, v23
	v_add_f16_e32 v22, v22, v105
	ds_write_b16 v25, v22
	ds_write_b16 v25, v111 offset:6
	ds_write_b16 v25, v108 offset:12
	v_perm_b32 v22, v103, v97, s0
	v_pk_mul_lo_u16 v22, v22, 18 op_sel_hi:[1,0]
	v_lshlrev_b32_e32 v23, 1, v98
	v_and_b32_e32 v42, 0xfffe, v22
	v_add_f16_e32 v15, v15, v109
	v_add3_u32 v90, 0, v42, v23
	v_add_f16_e32 v15, v15, v106
	ds_write_b16 v90, v15
	ds_write_b16 v90, v113 offset:6
	ds_write_b16 v90, v112 offset:12
	v_lshlrev_b32_e32 v15, 1, v104
	v_lshrrev_b32_e32 v22, 16, v22
	v_add_f16_e32 v14, v14, v110
	v_add3_u32 v15, 0, v22, v15
	v_add_f16_e32 v14, v14, v107
	ds_write_b16 v15, v14
	ds_write_b16 v15, v115 offset:6
	ds_write_b16 v15, v114 offset:12
	s_waitcnt lgkmcnt(0)
	s_barrier
	ds_read_u16 v65, v44
	ds_read_u16 v42, v29
	ds_read_u16 v58, v29 offset:864
	ds_read_u16 v57, v29 offset:2808
	;; [unrolled: 1-line block ×23, first 2 shown]
	ds_read_u16 v70, v43
	ds_read_u16 v71, v37
	;; [unrolled: 1-line block ×4, first 2 shown]
	ds_read_u16 v47, v29 offset:6264
	s_waitcnt lgkmcnt(0)
	s_barrier
	ds_write_b16 v116, v75
	ds_write_b16 v116, v89 offset:6
	ds_write_b16 v116, v6 offset:12
	v_add_f16_e32 v6, v99, v8
	v_add_f16_e32 v8, v8, v9
	;; [unrolled: 1-line block ×3, first 2 shown]
	v_fma_f16 v8, v8, -0.5, v99
	v_sub_f16_e32 v9, v95, v84
	v_fma_f16 v14, v9, s3, v8
	v_fma_f16 v8, v9, s2, v8
	ds_write_b16 v7, v6
	ds_write_b16 v7, v14 offset:6
	ds_write_b16 v7, v8 offset:12
	v_add_f16_e32 v7, v12, v13
	v_add_f16_e32 v6, v85, v12
	v_fma_f16 v7, v7, -0.5, v85
	v_sub_f16_e32 v8, v91, v83
	v_add_f16_e32 v6, v6, v13
	v_fma_f16 v9, v8, s3, v7
	v_fma_f16 v7, v8, s2, v7
	ds_write_b16 v122, v6
	ds_write_b16 v122, v9 offset:6
	ds_write_b16 v122, v7 offset:12
	v_add_f16_e32 v7, v10, v11
	v_add_f16_e32 v6, v82, v10
	v_fma_f16 v7, v7, -0.5, v82
	v_sub_f16_e32 v8, v78, v74
	v_add_f16_e32 v6, v6, v11
	v_fma_f16 v9, v8, s3, v7
	v_fma_f16 v7, v8, s2, v7
	ds_write_b16 v123, v6
	ds_write_b16 v123, v9 offset:6
	ds_write_b16 v123, v7 offset:12
	v_add_f16_e32 v6, v117, v72
	v_add_f16_e32 v7, v72, v73
	;; [unrolled: 1-line block ×3, first 2 shown]
	v_fma_f16 v7, v7, -0.5, v117
	v_sub_f16_e32 v8, v76, v77
	v_fma_f16 v9, v8, s3, v7
	v_fma_f16 v7, v8, s2, v7
	ds_write_b16 v124, v6
	ds_write_b16 v124, v9 offset:6
	ds_write_b16 v124, v7 offset:12
	v_add_f16_e32 v6, v118, v4
	v_add_f16_e32 v4, v4, v5
	;; [unrolled: 1-line block ×3, first 2 shown]
	v_fma_f16 v4, v4, -0.5, v118
	v_sub_f16_e32 v5, v79, v100
	v_fma_f16 v7, v5, s3, v4
	v_fma_f16 v4, v5, s2, v4
	v_add_f16_e32 v5, v80, v81
	ds_write_b16 v24, v6
	ds_write_b16 v24, v7 offset:6
	ds_write_b16 v24, v4 offset:12
	v_fma_f16 v5, v5, -0.5, v121
	v_sub_f16_e32 v6, v101, v88
	v_add_f16_e32 v9, v86, v87
	v_fma_f16 v7, v6, s3, v5
	v_fma_f16 v5, v6, s2, v5
	v_add_f16_e32 v6, v41, v0
	v_add_f16_e32 v0, v0, v1
	v_fma_f16 v9, v9, -0.5, v119
	v_sub_f16_e32 v10, v109, v106
	v_add_f16_e32 v4, v121, v80
	v_add_f16_e32 v6, v6, v1
	v_fma_f16 v0, v0, -0.5, v41
	v_sub_f16_e32 v1, v102, v105
	v_fma_f16 v11, v10, s3, v9
	v_fma_f16 v9, v10, s2, v9
	v_add_f16_e32 v10, v120, v2
	v_add_f16_e32 v2, v2, v3
	;; [unrolled: 1-line block ×3, first 2 shown]
	v_fma_f16 v8, v1, s3, v0
	v_fma_f16 v0, v1, s2, v0
	v_add_f16_e32 v1, v119, v86
	v_add_f16_e32 v10, v10, v3
	v_fma_f16 v2, v2, -0.5, v120
	v_sub_f16_e32 v3, v110, v107
	v_add_f16_e32 v1, v1, v87
	v_fma_f16 v12, v3, s3, v2
	v_fma_f16 v2, v3, s2, v2
	ds_write_b16 v40, v4
	ds_write_b16 v40, v7 offset:6
	ds_write_b16 v40, v5 offset:12
	ds_write_b16 v25, v6
	ds_write_b16 v25, v8 offset:6
	ds_write_b16 v25, v0 offset:12
	;; [unrolled: 3-line block ×4, first 2 shown]
	v_mov_b32_e32 v8, 57
	v_mul_lo_u16_sdwa v0, v26, v8 dst_sel:DWORD dst_unused:UNUSED_PAD src0_sel:BYTE_0 src1_sel:DWORD
	v_lshrrev_b16_e32 v24, 9, v0
	v_mul_lo_u16_e32 v0, 9, v24
	v_sub_u16_e32 v25, v26, v0
	v_mov_b32_e32 v9, 9
	v_mul_u32_u24_sdwa v0, v25, v9 dst_sel:DWORD dst_unused:UNUSED_PAD src0_sel:BYTE_0 src1_sel:DWORD
	v_lshlrev_b32_e32 v72, 2, v0
	s_waitcnt lgkmcnt(0)
	s_barrier
	global_load_dwordx4 v[4:7], v72, s[4:5] offset:24
	global_load_dwordx4 v[0:3], v72, s[4:5] offset:40
	v_mul_lo_u16_sdwa v8, v27, v8 dst_sel:DWORD dst_unused:UNUSED_PAD src0_sel:BYTE_0 src1_sel:DWORD
	v_lshrrev_b16_e32 v40, 9, v8
	v_mul_lo_u16_e32 v8, 9, v40
	ds_read_u16 v75, v37
	v_sub_u16_e32 v41, v27, v8
	v_mul_u32_u24_sdwa v8, v41, v9 dst_sel:DWORD dst_unused:UNUSED_PAD src0_sel:BYTE_0 src1_sel:DWORD
	v_lshlrev_b32_e32 v73, 2, v8
	global_load_dwordx4 v[8:11], v73, s[4:5] offset:24
	global_load_dwordx4 v[12:15], v73, s[4:5] offset:40
	ds_read_u16 v74, v43
	ds_read_u16 v43, v44
	;; [unrolled: 1-line block ×3, first 2 shown]
	s_mov_b32 s0, 0xe38f
	v_mul_u32_u24_e32 v24, 0xb4, v24
	v_lshlrev_b32_sdwa v25, v20, v25 dst_sel:DWORD dst_unused:UNUSED_PAD src0_sel:DWORD src1_sel:BYTE_0
	v_add3_u32 v24, 0, v24, v25
	v_mul_u32_u24_e32 v25, 0xb4, v40
	v_lshlrev_b32_sdwa v40, v20, v41 dst_sel:DWORD dst_unused:UNUSED_PAD src0_sel:DWORD src1_sel:BYTE_0
	v_add3_u32 v25, 0, v25, v40
	s_waitcnt vmcnt(3) lgkmcnt(3)
	v_mul_f16_sdwa v44, v75, v4 dst_sel:DWORD dst_unused:UNUSED_PAD src0_sel:DWORD src1_sel:WORD_1
	v_fma_f16 v88, v71, v4, -v44
	v_mul_f16_sdwa v71, v71, v4 dst_sel:DWORD dst_unused:UNUSED_PAD src0_sel:DWORD src1_sel:WORD_1
	v_fma_f16 v71, v75, v4, v71
	s_waitcnt lgkmcnt(2)
	v_mul_f16_sdwa v4, v74, v5 dst_sel:DWORD dst_unused:UNUSED_PAD src0_sel:DWORD src1_sel:WORD_1
	v_fma_f16 v89, v70, v5, -v4
	v_mul_f16_sdwa v4, v70, v5 dst_sel:DWORD dst_unused:UNUSED_PAD src0_sel:DWORD src1_sel:WORD_1
	v_fma_f16 v90, v74, v5, v4
	ds_read_u16 v5, v29 offset:2592
	v_mul_u32_u24_sdwa v44, v18, s0 dst_sel:DWORD dst_unused:UNUSED_PAD src0_sel:WORD_0 src1_sel:DWORD
	v_lshrrev_b32_e32 v44, 19, v44
	v_mul_lo_u16_e32 v77, 9, v44
	s_waitcnt lgkmcnt(2)
	v_mul_f16_sdwa v4, v43, v6 dst_sel:DWORD dst_unused:UNUSED_PAD src0_sel:DWORD src1_sel:WORD_1
	v_sub_u16_e32 v78, v18, v77
	v_fma_f16 v91, v65, v6, -v4
	v_mul_f16_sdwa v4, v65, v6 dst_sel:DWORD dst_unused:UNUSED_PAD src0_sel:DWORD src1_sel:WORD_1
	v_mul_u32_u24_e32 v77, 9, v78
	v_fma_f16 v43, v43, v6, v4
	ds_read_u16 v6, v29 offset:2376
	s_waitcnt lgkmcnt(1)
	v_mul_f16_sdwa v4, v5, v7 dst_sel:DWORD dst_unused:UNUSED_PAD src0_sel:DWORD src1_sel:WORD_1
	v_lshlrev_b32_e32 v77, 2, v77
	v_fma_f16 v65, v68, v7, -v4
	v_mul_f16_sdwa v4, v68, v7 dst_sel:DWORD dst_unused:UNUSED_PAD src0_sel:DWORD src1_sel:WORD_1
	global_load_dwordx4 v[80:83], v77, s[4:5] offset:24
	v_fma_f16 v68, v5, v7, v4
	ds_read_u16 v4, v29 offset:3240
	ds_read_u16 v5, v29 offset:3456
	;; [unrolled: 1-line block ×8, first 2 shown]
	s_waitcnt vmcnt(3) lgkmcnt(7)
	v_mul_f16_sdwa v74, v4, v0 dst_sel:DWORD dst_unused:UNUSED_PAD src0_sel:DWORD src1_sel:WORD_1
	v_fma_f16 v95, v69, v0, -v74
	v_mul_f16_sdwa v69, v69, v0 dst_sel:DWORD dst_unused:UNUSED_PAD src0_sel:DWORD src1_sel:WORD_1
	v_fma_f16 v96, v4, v0, v69
	s_waitcnt lgkmcnt(2)
	v_mul_f16_sdwa v0, v7, v1 dst_sel:DWORD dst_unused:UNUSED_PAD src0_sel:DWORD src1_sel:WORD_1
	v_fma_f16 v97, v67, v1, -v0
	v_mul_f16_sdwa v0, v67, v1 dst_sel:DWORD dst_unused:UNUSED_PAD src0_sel:DWORD src1_sel:WORD_1
	global_load_dwordx4 v[84:87], v77, s[4:5] offset:40
	v_fma_f16 v67, v7, v1, v0
	ds_read_u16 v0, v29 offset:4536
	ds_read_u16 v1, v29 offset:4752
	;; [unrolled: 1-line block ×8, first 2 shown]
	global_load_dword v72, v72, s[4:5] offset:56
	s_waitcnt lgkmcnt(7)
	v_mul_f16_sdwa v7, v0, v2 dst_sel:DWORD dst_unused:UNUSED_PAD src0_sel:DWORD src1_sel:WORD_1
	global_load_dword v73, v73, s[4:5] offset:56
	v_fma_f16 v103, v64, v2, -v7
	global_load_dword v105, v77, s[4:5] offset:56
	v_mul_f16_sdwa v7, v64, v2 dst_sel:DWORD dst_unused:UNUSED_PAD src0_sel:DWORD src1_sel:WORD_1
	v_fma_f16 v64, v0, v2, v7
	s_waitcnt lgkmcnt(1)
	v_mul_f16_sdwa v0, v4, v3 dst_sel:DWORD dst_unused:UNUSED_PAD src0_sel:DWORD src1_sel:WORD_1
	v_fma_f16 v104, v66, v3, -v0
	ds_read_u16 v0, v29 offset:864
	v_mul_f16_sdwa v2, v66, v3 dst_sel:DWORD dst_unused:UNUSED_PAD src0_sel:DWORD src1_sel:WORD_1
	v_fma_f16 v66, v4, v3, v2
	ds_read_u16 v2, v29 offset:2160
	ds_read_u16 v3, v29 offset:1728
	;; [unrolled: 1-line block ×4, first 2 shown]
	ds_read_u16 v107, v29
	s_movk_i32 s0, 0x34f2
	s_waitcnt vmcnt(6) lgkmcnt(5)
	v_mul_f16_sdwa v4, v0, v8 dst_sel:DWORD dst_unused:UNUSED_PAD src0_sel:DWORD src1_sel:WORD_1
	v_fma_f16 v108, v58, v8, -v4
	v_mul_f16_sdwa v4, v58, v8 dst_sel:DWORD dst_unused:UNUSED_PAD src0_sel:DWORD src1_sel:WORD_1
	v_fma_f16 v4, v0, v8, v4
	s_waitcnt lgkmcnt(2)
	v_mul_f16_sdwa v0, v7, v9 dst_sel:DWORD dst_unused:UNUSED_PAD src0_sel:DWORD src1_sel:WORD_1
	v_fma_f16 v74, v63, v9, -v0
	v_mul_f16_sdwa v0, v63, v9 dst_sel:DWORD dst_unused:UNUSED_PAD src0_sel:DWORD src1_sel:WORD_1
	v_fma_f16 v63, v7, v9, v0
	v_mul_f16_sdwa v0, v2, v10 dst_sel:DWORD dst_unused:UNUSED_PAD src0_sel:DWORD src1_sel:WORD_1
	v_fma_f16 v58, v61, v10, -v0
	v_mul_f16_sdwa v0, v61, v10 dst_sel:DWORD dst_unused:UNUSED_PAD src0_sel:DWORD src1_sel:WORD_1
	v_fma_f16 v7, v2, v10, v0
	;; [unrolled: 4-line block ×3, first 2 shown]
	s_waitcnt vmcnt(5)
	v_mul_f16_sdwa v0, v5, v12 dst_sel:DWORD dst_unused:UNUSED_PAD src0_sel:DWORD src1_sel:WORD_1
	v_fma_f16 v57, v62, v12, -v0
	v_mul_f16_sdwa v0, v62, v12 dst_sel:DWORD dst_unused:UNUSED_PAD src0_sel:DWORD src1_sel:WORD_1
	v_fma_f16 v10, v5, v12, v0
	v_mul_f16_sdwa v0, v75, v13 dst_sel:DWORD dst_unused:UNUSED_PAD src0_sel:DWORD src1_sel:WORD_1
	v_fma_f16 v79, v59, v13, -v0
	v_mul_f16_sdwa v0, v59, v13 dst_sel:DWORD dst_unused:UNUSED_PAD src0_sel:DWORD src1_sel:WORD_1
	v_fma_f16 v70, v75, v13, v0
	;; [unrolled: 4-line block ×4, first 2 shown]
	v_sub_f16_e32 v61, v68, v67
	v_sub_f16_e32 v62, v97, v104
	v_lshlrev_b32_e32 v40, 1, v78
	s_waitcnt vmcnt(4)
	v_mul_f16_sdwa v1, v3, v81 dst_sel:DWORD dst_unused:UNUSED_PAD src0_sel:DWORD src1_sel:WORD_1
	v_fma_f16 v9, v53, v81, -v1
	v_mul_f16_sdwa v1, v53, v81 dst_sel:DWORD dst_unused:UNUSED_PAD src0_sel:DWORD src1_sel:WORD_1
	v_fma_f16 v2, v3, v81, v1
	v_mul_f16_sdwa v1, v6, v82 dst_sel:DWORD dst_unused:UNUSED_PAD src0_sel:DWORD src1_sel:WORD_1
	v_mul_f16_sdwa v3, v94, v83 dst_sel:DWORD dst_unused:UNUSED_PAD src0_sel:DWORD src1_sel:WORD_1
	v_fma_f16 v53, v50, v82, -v1
	v_mul_f16_sdwa v1, v50, v82 dst_sel:DWORD dst_unused:UNUSED_PAD src0_sel:DWORD src1_sel:WORD_1
	v_fma_f16 v12, v55, v83, -v3
	v_mul_f16_sdwa v3, v55, v83 dst_sel:DWORD dst_unused:UNUSED_PAD src0_sel:DWORD src1_sel:WORD_1
	s_waitcnt vmcnt(3)
	v_mul_f16_sdwa v5, v92, v85 dst_sel:DWORD dst_unused:UNUSED_PAD src0_sel:DWORD src1_sel:WORD_1
	v_mul_f16_sdwa v11, v99, v87 dst_sel:DWORD dst_unused:UNUSED_PAD src0_sel:DWORD src1_sel:WORD_1
	v_fma_f16 v15, v48, v85, -v5
	s_waitcnt vmcnt(2)
	v_mul_f16_sdwa v13, v100, v72 dst_sel:DWORD dst_unused:UNUSED_PAD src0_sel:DWORD src1_sel:WORD_1
	v_mul_f16_sdwa v5, v48, v85 dst_sel:DWORD dst_unused:UNUSED_PAD src0_sel:DWORD src1_sel:WORD_1
	v_fma_f16 v48, v49, v87, -v11
	v_mul_f16_sdwa v11, v49, v87 dst_sel:DWORD dst_unused:UNUSED_PAD src0_sel:DWORD src1_sel:WORD_1
	v_fma_f16 v49, v46, v72, -v13
	v_mul_f16_sdwa v13, v46, v72 dst_sel:DWORD dst_unused:UNUSED_PAD src0_sel:DWORD src1_sel:WORD_1
	v_fma_f16 v46, v100, v72, v13
	ds_read_u16 v13, v29 offset:6264
	ds_read_u16 v81, v32
	v_fma_f16 v1, v6, v82, v1
	v_fma_f16 v6, v94, v83, v3
	v_mul_f16_sdwa v3, v93, v84 dst_sel:DWORD dst_unused:UNUSED_PAD src0_sel:DWORD src1_sel:WORD_1
	v_fma_f16 v8, v92, v85, v5
	v_mul_f16_sdwa v5, v102, v86 dst_sel:DWORD dst_unused:UNUSED_PAD src0_sel:DWORD src1_sel:WORD_1
	s_waitcnt lgkmcnt(3)
	v_mul_f16_sdwa v0, v106, v80 dst_sel:DWORD dst_unused:UNUSED_PAD src0_sel:DWORD src1_sel:WORD_1
	v_fma_f16 v50, v51, v84, -v3
	v_mul_f16_sdwa v3, v51, v84 dst_sel:DWORD dst_unused:UNUSED_PAD src0_sel:DWORD src1_sel:WORD_1
	v_fma_f16 v51, v52, v86, -v5
	v_mul_f16_sdwa v5, v52, v86 dst_sel:DWORD dst_unused:UNUSED_PAD src0_sel:DWORD src1_sel:WORD_1
	s_waitcnt vmcnt(1)
	v_mul_f16_sdwa v52, v101, v73 dst_sel:DWORD dst_unused:UNUSED_PAD src0_sel:DWORD src1_sel:WORD_1
	v_fma_f16 v54, v56, v80, -v0
	v_mul_f16_sdwa v0, v56, v80 dst_sel:DWORD dst_unused:UNUSED_PAD src0_sel:DWORD src1_sel:WORD_1
	v_fma_f16 v52, v45, v73, -v52
	v_mul_f16_sdwa v45, v45, v73 dst_sel:DWORD dst_unused:UNUSED_PAD src0_sel:DWORD src1_sel:WORD_1
	v_fma_f16 v0, v106, v80, v0
	v_fma_f16 v80, v101, v73, v45
	s_waitcnt vmcnt(0) lgkmcnt(1)
	v_mul_f16_sdwa v45, v13, v105 dst_sel:DWORD dst_unused:UNUSED_PAD src0_sel:DWORD src1_sel:WORD_1
	v_fma_f16 v45, v47, v105, -v45
	v_mul_f16_sdwa v47, v47, v105 dst_sel:DWORD dst_unused:UNUSED_PAD src0_sel:DWORD src1_sel:WORD_1
	v_fma_f16 v13, v13, v105, v47
	v_sub_f16_e32 v47, v89, v65
	v_sub_f16_e32 v55, v104, v97
	v_add_f16_e32 v47, v47, v55
	v_add_f16_e32 v55, v65, v97
	v_fma_f16 v55, v55, -0.5, v42
	v_sub_f16_e32 v56, v90, v66
	v_fma_f16 v60, v56, s10, v55
	v_fma_f16 v55, v56, s1, v55
	;; [unrolled: 1-line block ×6, first 2 shown]
	v_sub_f16_e32 v55, v65, v89
	v_add_f16_e32 v55, v55, v62
	v_add_f16_e32 v62, v89, v104
	v_fma_f16 v62, v62, -0.5, v42
	v_fma_f16 v72, v61, s1, v62
	v_fma_f16 v61, v61, s10, v62
	;; [unrolled: 1-line block ×3, first 2 shown]
	v_add_f16_e32 v42, v42, v89
	v_fma_f16 v56, v56, s6, v61
	v_fma_f16 v61, v55, s0, v62
	v_add_f16_e32 v42, v42, v65
	v_sub_f16_e32 v62, v65, v97
	v_sub_f16_e32 v65, v90, v68
	v_sub_f16_e32 v72, v66, v67
	v_add_f16_e32 v65, v65, v72
	v_add_f16_e32 v72, v68, v67
	v_fma_f16 v55, v55, s0, v56
	v_sub_f16_e32 v56, v89, v104
	v_fma_f16 v72, v72, -0.5, v107
	v_fma_f16 v73, v56, s1, v72
	v_fma_f16 v72, v56, s10, v72
	;; [unrolled: 1-line block ×4, first 2 shown]
	v_add_f16_e32 v82, v107, v90
	v_fma_f16 v73, v65, s0, v73
	v_fma_f16 v65, v65, s0, v72
	v_add_f16_e32 v72, v90, v66
	v_add_f16_e32 v82, v82, v68
	v_fma_f16 v72, v72, -0.5, v107
	v_add_f16_e32 v82, v82, v67
	v_sub_f16_e32 v68, v68, v90
	v_add_f16_e32 v82, v82, v66
	v_sub_f16_e32 v66, v67, v66
	v_fma_f16 v67, v62, s10, v72
	v_fma_f16 v62, v62, s1, v72
	v_add_f16_e32 v66, v68, v66
	v_fma_f16 v67, v56, s6, v67
	v_fma_f16 v56, v56, s7, v62
	v_fma_f16 v62, v66, s0, v67
	v_fma_f16 v56, v66, s0, v56
	v_sub_f16_e32 v66, v91, v95
	v_sub_f16_e32 v67, v49, v103
	v_add_f16_e32 v66, v66, v67
	v_add_f16_e32 v67, v95, v103
	v_fma_f16 v67, v67, -0.5, v88
	v_sub_f16_e32 v68, v43, v46
	v_fma_f16 v72, v68, s10, v67
	v_sub_f16_e32 v83, v96, v64
	v_fma_f16 v67, v68, s1, v67
	v_fma_f16 v72, v83, s7, v72
	;; [unrolled: 1-line block ×6, first 2 shown]
	v_sub_f16_e32 v67, v95, v91
	v_sub_f16_e32 v84, v103, v49
	v_add_f16_e32 v67, v67, v84
	v_add_f16_e32 v84, v91, v49
	v_fma_f16 v84, v84, -0.5, v88
	v_fma_f16 v85, v83, s1, v84
	v_fma_f16 v83, v83, s10, v84
	;; [unrolled: 1-line block ×6, first 2 shown]
	v_add_f16_e32 v68, v88, v91
	v_fma_f16 v5, v102, v86, v5
	v_add_f16_e32 v68, v68, v95
	v_sub_f16_e32 v85, v43, v96
	v_sub_f16_e32 v86, v46, v64
	v_add_f16_e32 v68, v68, v103
	v_add_f16_e32 v85, v85, v86
	;; [unrolled: 1-line block ×4, first 2 shown]
	v_sub_f16_e32 v49, v91, v49
	v_fma_f16 v86, v86, -0.5, v71
	v_fma_f16 v11, v99, v87, v11
	v_sub_f16_e32 v84, v95, v103
	v_fma_f16 v87, v49, s1, v86
	v_fma_f16 v86, v49, s10, v86
	;; [unrolled: 1-line block ×6, first 2 shown]
	v_add_f16_e32 v86, v43, v46
	v_fma_f16 v86, v86, -0.5, v71
	v_add_f16_e32 v71, v71, v43
	v_add_f16_e32 v71, v71, v96
	;; [unrolled: 1-line block ×3, first 2 shown]
	v_sub_f16_e32 v43, v96, v43
	v_add_f16_e32 v71, v71, v46
	v_sub_f16_e32 v46, v64, v46
	v_add_f16_e32 v43, v43, v46
	v_fma_f16 v46, v84, s10, v86
	v_fma_f16 v64, v84, s1, v86
	;; [unrolled: 1-line block ×6, first 2 shown]
	v_mul_f16_e32 v49, 0x38b4, v87
	v_fma_f16 v49, v72, s11, v49
	v_mul_f16_e32 v64, 0xb8b4, v72
	v_mul_f16_e32 v72, 0x3b9c, v46
	v_fma_f16 v72, v83, s0, v72
	v_mul_f16_e32 v83, 0xbb9c, v83
	v_fma_f16 v46, v46, s0, v83
	v_mul_f16_e32 v83, 0x34f2, v67
	v_fma_f16 v83, v43, s10, -v83
	v_mul_f16_e32 v43, 0x34f2, v43
	v_fma_f16 v43, v67, s1, -v43
	v_add_f16_e32 v88, v62, v46
	v_sub_f16_e32 v89, v62, v46
	v_add_f16_e32 v90, v56, v43
	v_sub_f16_e32 v91, v56, v43
	v_sub_f16_e32 v43, v74, v77
	;; [unrolled: 1-line block ×3, first 2 shown]
	v_add_f16_e32 v43, v43, v46
	v_add_f16_e32 v46, v77, v79
	v_fma_f16 v64, v87, s11, v64
	v_fma_f16 v46, v46, -0.5, v23
	v_sub_f16_e32 v56, v63, v75
	v_mul_f16_e32 v84, 0x3a79, v85
	v_add_f16_e32 v86, v73, v64
	v_sub_f16_e32 v87, v73, v64
	v_fma_f16 v62, v56, s10, v46
	v_sub_f16_e32 v64, v69, v70
	v_fma_f16 v46, v56, s1, v46
	v_mul_f16_e32 v67, 0x3a79, v66
	v_fma_f16 v66, v66, s6, -v84
	v_fma_f16 v62, v64, s7, v62
	v_fma_f16 v46, v64, s6, v46
	v_add_f16_e32 v92, v65, v66
	v_sub_f16_e32 v93, v65, v66
	v_fma_f16 v62, v43, s0, v62
	v_fma_f16 v43, v43, s0, v46
	v_sub_f16_e32 v46, v77, v74
	v_sub_f16_e32 v65, v79, v109
	v_add_f16_e32 v46, v46, v65
	v_add_f16_e32 v65, v74, v109
	v_fma_f16 v65, v65, -0.5, v23
	v_fma_f16 v66, v64, s1, v65
	v_fma_f16 v64, v64, s10, v65
	;; [unrolled: 1-line block ×6, first 2 shown]
	v_sub_f16_e32 v56, v58, v57
	v_sub_f16_e32 v65, v52, v59
	v_add_f16_e32 v42, v42, v97
	v_add_f16_e32 v56, v56, v65
	;; [unrolled: 1-line block ×4, first 2 shown]
	v_fma_f16 v67, v85, s7, -v67
	v_fma_f16 v65, v65, -0.5, v108
	v_sub_f16_e32 v66, v7, v80
	v_add_f16_e32 v84, v42, v68
	v_sub_f16_e32 v42, v42, v68
	v_add_f16_e32 v68, v60, v49
	;; [unrolled: 2-line block ×6, first 2 shown]
	v_sub_f16_e32 v82, v82, v71
	v_fma_f16 v67, v66, s10, v65
	v_sub_f16_e32 v71, v10, v14
	v_fma_f16 v65, v66, s1, v65
	v_fma_f16 v67, v71, s7, v67
	;; [unrolled: 1-line block ×5, first 2 shown]
	v_sub_f16_e32 v56, v57, v58
	v_sub_f16_e32 v65, v59, v52
	v_add_f16_e32 v56, v56, v65
	v_add_f16_e32 v65, v58, v52
	v_fma_f16 v65, v65, -0.5, v108
	v_fma_f16 v67, v71, s1, v65
	v_fma_f16 v65, v71, s10, v65
	;; [unrolled: 1-line block ×6, first 2 shown]
	v_add_f16_e32 v56, v108, v58
	v_add_f16_e32 v56, v56, v57
	;; [unrolled: 1-line block ×4, first 2 shown]
	v_sub_f16_e32 v52, v58, v52
	v_sub_f16_e32 v57, v57, v59
	;; [unrolled: 1-line block ×4, first 2 shown]
	v_add_f16_e32 v58, v58, v59
	v_add_f16_e32 v59, v10, v14
	v_fma_f16 v59, v59, -0.5, v4
	v_fma_f16 v65, v52, s1, v59
	v_fma_f16 v59, v52, s10, v59
	;; [unrolled: 1-line block ×6, first 2 shown]
	v_sub_f16_e32 v58, v10, v7
	v_sub_f16_e32 v59, v14, v80
	v_add_f16_e32 v58, v58, v59
	v_add_f16_e32 v59, v7, v80
	;; [unrolled: 1-line block ×3, first 2 shown]
	v_fma_f16 v59, v59, -0.5, v4
	v_add_f16_e32 v23, v23, v77
	v_fma_f16 v65, v57, s10, v59
	v_fma_f16 v57, v57, s1, v59
	v_add_f16_e32 v23, v23, v79
	v_fma_f16 v59, v52, s6, v65
	v_fma_f16 v52, v52, s7, v57
	v_add_f16_e32 v23, v23, v109
	v_fma_f16 v101, v58, s0, v52
	v_add_f16_e32 v52, v23, v56
	v_sub_f16_e32 v23, v23, v56
	v_mul_f16_e32 v56, 0x38b4, v98
	v_fma_f16 v100, v58, s0, v59
	v_fma_f16 v56, v94, s11, v56
	v_add_f16_e32 v57, v62, v56
	v_sub_f16_e32 v56, v62, v56
	v_mul_f16_e32 v58, 0x3b9c, v100
	v_mul_f16_e32 v62, 0x34f2, v97
	v_fma_f16 v58, v96, s0, v58
	v_fma_f16 v62, v101, s10, -v62
	v_add_f16_e32 v59, v64, v58
	v_sub_f16_e32 v58, v64, v58
	v_add_f16_e32 v64, v46, v62
	v_sub_f16_e32 v46, v46, v62
	v_mul_f16_e32 v62, 0x3a79, v95
	v_fma_f16 v62, v99, s7, -v62
	v_add_f16_e32 v65, v43, v62
	v_sub_f16_e32 v43, v43, v62
	v_sub_f16_e32 v62, v9, v12
	;; [unrolled: 1-line block ×3, first 2 shown]
	v_add_f16_e32 v62, v62, v66
	v_add_f16_e32 v66, v12, v15
	v_fma_f16 v66, v66, -0.5, v22
	v_sub_f16_e32 v67, v2, v11
	v_fma_f16 v71, v67, s10, v66
	v_sub_f16_e32 v73, v6, v8
	v_fma_f16 v66, v67, s1, v66
	v_fma_f16 v71, v73, s7, v71
	;; [unrolled: 1-line block ×5, first 2 shown]
	v_sub_f16_e32 v66, v12, v9
	v_sub_f16_e32 v102, v15, v48
	v_add_f16_e32 v66, v66, v102
	v_add_f16_e32 v102, v9, v48
	v_fma_f16 v102, v102, -0.5, v22
	v_fma_f16 v103, v73, s1, v102
	v_fma_f16 v73, v73, s10, v102
	;; [unrolled: 1-line block ×6, first 2 shown]
	v_sub_f16_e32 v67, v53, v50
	v_sub_f16_e32 v102, v45, v51
	v_add_f16_e32 v67, v67, v102
	v_add_f16_e32 v102, v50, v51
	v_fma_f16 v102, v102, -0.5, v54
	v_sub_f16_e32 v103, v1, v13
	v_fma_f16 v104, v103, s10, v102
	v_sub_f16_e32 v105, v3, v5
	v_fma_f16 v102, v103, s1, v102
	v_fma_f16 v104, v105, s7, v104
	;; [unrolled: 1-line block ×5, first 2 shown]
	v_sub_f16_e32 v67, v50, v53
	v_sub_f16_e32 v106, v51, v45
	v_add_f16_e32 v67, v67, v106
	v_add_f16_e32 v106, v53, v45
	v_fma_f16 v106, v106, -0.5, v54
	v_add_f16_e32 v54, v54, v53
	v_add_f16_e32 v54, v54, v50
	;; [unrolled: 1-line block ×4, first 2 shown]
	v_sub_f16_e32 v45, v53, v45
	v_sub_f16_e32 v50, v50, v51
	;; [unrolled: 1-line block ×4, first 2 shown]
	v_fma_f16 v107, v105, s1, v106
	v_fma_f16 v105, v105, s10, v106
	v_add_f16_e32 v51, v51, v53
	v_add_f16_e32 v53, v3, v5
	v_fma_f16 v106, v103, s7, v107
	v_fma_f16 v103, v103, s6, v105
	v_fma_f16 v53, v53, -0.5, v0
	v_fma_f16 v105, v67, s0, v106
	v_fma_f16 v103, v67, s0, v103
	;; [unrolled: 1-line block ×8, first 2 shown]
	v_sub_f16_e32 v51, v3, v1
	v_sub_f16_e32 v53, v5, v13
	v_add_f16_e32 v51, v51, v53
	v_add_f16_e32 v53, v1, v13
	v_fma_f16 v53, v53, -0.5, v0
	v_fma_f16 v67, v50, s10, v53
	v_fma_f16 v50, v50, s1, v53
	;; [unrolled: 1-line block ×5, first 2 shown]
	v_add_f16_e32 v22, v22, v9
	v_mul_f16_e32 v50, 0x38b4, v106
	v_mul_f16_e32 v67, 0x34f2, v103
	v_fma_f16 v108, v51, s0, v53
	v_add_f16_e32 v22, v22, v12
	v_fma_f16 v50, v104, s11, v50
	v_fma_f16 v67, v110, s10, -v67
	v_add_f16_e32 v22, v22, v15
	v_add_f16_e32 v51, v71, v50
	v_sub_f16_e32 v50, v71, v50
	v_mul_f16_e32 v53, 0x3b9c, v108
	v_add_f16_e32 v71, v66, v67
	v_sub_f16_e32 v66, v66, v67
	v_mul_f16_e32 v67, 0x3a79, v102
	v_add_f16_e32 v22, v22, v48
	v_fma_f16 v53, v105, s0, v53
	v_fma_f16 v67, v107, s7, -v67
	s_waitcnt lgkmcnt(0)
	s_barrier
	ds_write_b16 v24, v84
	ds_write_b16 v24, v68 offset:18
	ds_write_b16 v24, v60 offset:36
	;; [unrolled: 1-line block ×9, first 2 shown]
	ds_write_b16 v25, v52
	ds_write_b16 v25, v57 offset:18
	ds_write_b16 v25, v59 offset:36
	;; [unrolled: 1-line block ×9, first 2 shown]
	v_mul_u32_u24_e32 v23, 0xb4, v44
	v_add_f16_e32 v45, v22, v54
	v_sub_f16_e32 v22, v22, v54
	v_add_f16_e32 v54, v73, v53
	v_sub_f16_e32 v53, v73, v53
	;; [unrolled: 2-line block ×3, first 2 shown]
	v_add3_u32 v23, 0, v23, v40
	ds_write_b16 v23, v45
	ds_write_b16 v23, v51 offset:18
	ds_write_b16 v23, v54 offset:36
	;; [unrolled: 1-line block ×9, first 2 shown]
	s_waitcnt lgkmcnt(0)
	s_barrier
	ds_read_u16 v59, v29 offset:2592
	ds_read_u16 v41, v37
	ds_read_u16 v44, v29
	ds_read_u16 v65, v29 offset:1296
	ds_read_u16 v62, v29 offset:1512
	;; [unrolled: 1-line block ×11, first 2 shown]
	ds_read_u16 v73, v39
	ds_read_u16 v40, v38
	ds_read_u16 v66, v29 offset:2376
	ds_read_u16 v72, v29 offset:2160
	;; [unrolled: 1-line block ×11, first 2 shown]
	ds_read_u16 v42, v33
	ds_read_u16 v43, v32
	ds_read_u16 v47, v29 offset:6264
	s_waitcnt lgkmcnt(0)
	s_barrier
	ds_write_b16 v24, v85
	ds_write_b16 v24, v86 offset:18
	ds_write_b16 v24, v88 offset:36
	;; [unrolled: 1-line block ×9, first 2 shown]
	v_sub_f16_e32 v22, v74, v109
	v_sub_f16_e32 v24, v77, v79
	;; [unrolled: 1-line block ×4, first 2 shown]
	v_add_f16_e32 v74, v74, v77
	v_add_f16_e32 v77, v69, v70
	v_fma_f16 v77, v77, -0.5, v81
	v_fma_f16 v78, v22, s1, v77
	v_fma_f16 v77, v22, s10, v77
	;; [unrolled: 1-line block ×4, first 2 shown]
	v_add_f16_e32 v79, v81, v63
	v_fma_f16 v78, v74, s0, v78
	v_fma_f16 v74, v74, s0, v77
	v_add_f16_e32 v77, v63, v75
	v_add_f16_e32 v79, v79, v69
	v_fma_f16 v77, v77, -0.5, v81
	v_sub_f16_e32 v63, v69, v63
	v_add_f16_e32 v69, v79, v70
	v_sub_f16_e32 v70, v70, v75
	v_add_f16_e32 v63, v63, v70
	v_fma_f16 v70, v24, s10, v77
	v_fma_f16 v24, v24, s1, v77
	v_add_f16_e32 v4, v4, v7
	v_fma_f16 v70, v22, s6, v70
	v_fma_f16 v22, v22, s7, v24
	v_add_f16_e32 v4, v4, v10
	v_sub_f16_e32 v9, v9, v48
	v_sub_f16_e32 v12, v12, v15
	;; [unrolled: 1-line block ×4, first 2 shown]
	v_fma_f16 v24, v63, s0, v70
	v_fma_f16 v22, v63, s0, v22
	v_add_f16_e32 v4, v4, v14
	v_mul_f16_e32 v10, 0xbb9c, v96
	v_mul_f16_e32 v14, 0x34f2, v101
	;; [unrolled: 1-line block ×3, first 2 shown]
	v_add_f16_e32 v15, v15, v48
	v_add_f16_e32 v48, v6, v8
	v_fma_f16 v10, v100, s0, v10
	v_fma_f16 v14, v97, s1, -v14
	v_fma_f16 v63, v95, s6, -v63
	v_fma_f16 v48, v48, -0.5, v76
	v_add_f16_e32 v69, v69, v75
	v_add_f16_e32 v75, v24, v10
	v_sub_f16_e32 v10, v24, v10
	v_add_f16_e32 v24, v22, v14
	v_sub_f16_e32 v14, v22, v14
	;; [unrolled: 2-line block ×3, first 2 shown]
	v_fma_f16 v74, v9, s1, v48
	v_fma_f16 v48, v9, s10, v48
	;; [unrolled: 1-line block ×6, first 2 shown]
	v_add_f16_e32 v48, v2, v11
	v_fma_f16 v48, v48, -0.5, v76
	v_add_f16_e32 v76, v76, v2
	v_add_f16_e32 v76, v76, v6
	v_sub_f16_e32 v2, v6, v2
	v_add_f16_e32 v6, v76, v8
	v_sub_f16_e32 v8, v8, v11
	v_add_f16_e32 v0, v0, v1
	v_add_f16_e32 v6, v6, v11
	v_add_f16_e32 v2, v2, v8
	v_fma_f16 v8, v12, s10, v48
	v_fma_f16 v11, v12, s1, v48
	v_add_f16_e32 v0, v0, v3
	v_fma_f16 v8, v9, s6, v8
	v_fma_f16 v9, v9, s7, v11
	v_add_f16_e32 v0, v0, v5
	v_add_f16_e32 v4, v4, v80
	v_mul_f16_e32 v7, 0xb8b4, v94
	v_fma_f16 v8, v2, s0, v8
	v_fma_f16 v2, v2, s0, v9
	v_add_f16_e32 v0, v0, v13
	v_mul_f16_e32 v1, 0xb8b4, v104
	v_mul_f16_e32 v3, 0xbb9c, v105
	v_mul_f16_e32 v5, 0x34f2, v110
	v_mul_f16_e32 v9, 0x3a79, v107
	v_fma_f16 v7, v98, s11, v7
	v_add_f16_e32 v70, v69, v4
	v_fma_f16 v1, v106, s11, v1
	v_fma_f16 v3, v108, s0, v3
	v_fma_f16 v5, v103, s1, -v5
	v_fma_f16 v9, v102, s6, -v9
	v_add_f16_e32 v11, v6, v0
	v_sub_f16_e32 v0, v6, v0
	s_movk_i32 s0, 0x5a
	v_sub_f16_e32 v4, v69, v4
	v_add_f16_e32 v69, v78, v7
	v_sub_f16_e32 v7, v78, v7
	v_add_f16_e32 v6, v74, v1
	;; [unrolled: 2-line block ×5, first 2 shown]
	v_sub_f16_e32 v9, v15, v9
	ds_write_b16 v25, v70
	ds_write_b16 v25, v69 offset:18
	ds_write_b16 v25, v75 offset:36
	;; [unrolled: 1-line block ×9, first 2 shown]
	ds_write_b16 v23, v11
	ds_write_b16 v23, v6 offset:18
	ds_write_b16 v23, v12 offset:36
	;; [unrolled: 1-line block ×9, first 2 shown]
	v_add_u32_e32 v0, 0xffffffa6, v26
	v_cmp_gt_u32_e64 s[0:1], s0, v26
	v_mov_b32_e32 v23, 0
	s_waitcnt lgkmcnt(0)
	v_cndmask_b32_e64 v48, v0, v26, s[0:1]
	v_mul_i32_i24_e32 v22, 5, v48
	v_lshl_add_u64 v[24:25], v[22:23], 2, s[4:5]
	s_barrier
	global_load_dwordx4 v[0:3], v[24:25], off offset:348
	s_movk_i32 s0, 0xb7
	v_mul_lo_u16_sdwa v4, v27, s0 dst_sel:DWORD dst_unused:UNUSED_PAD src0_sel:BYTE_0 src1_sel:DWORD
	v_lshrrev_b16_e32 v22, 14, v4
	v_mul_lo_u16_e32 v4, 0x5a, v22
	v_sub_u16_e32 v63, v27, v4
	v_mov_b32_e32 v4, 5
	v_mul_u32_u24_sdwa v4, v63, v4 dst_sel:DWORD dst_unused:UNUSED_PAD src0_sel:BYTE_0 src1_sel:DWORD
	v_lshlrev_b32_e32 v76, 2, v4
	global_load_dwordx4 v[4:7], v76, s[4:5] offset:348
	s_movk_i32 s0, 0x2d83
	v_mul_u32_u24_sdwa v8, v18, s0 dst_sel:DWORD dst_unused:UNUSED_PAD src0_sel:WORD_0 src1_sel:DWORD
	v_lshrrev_b32_e32 v69, 20, v8
	v_mul_lo_u16_e32 v8, 0x5a, v69
	v_sub_u16_e32 v70, v18, v8
	v_mul_u32_u24_e32 v8, 5, v70
	v_mul_u32_u24_sdwa v12, v19, s0 dst_sel:DWORD dst_unused:UNUSED_PAD src0_sel:WORD_0 src1_sel:DWORD
	v_lshlrev_b32_e32 v77, 2, v8
	global_load_dwordx4 v[8:11], v77, s[4:5] offset:348
	v_lshrrev_b32_e32 v74, 20, v12
	ds_read_u16 v79, v39
	v_mul_lo_u16_e32 v12, 0x5a, v74
	v_sub_u16_e32 v75, v19, v12
	v_mul_u32_u24_e32 v12, 5, v75
	v_lshlrev_b32_e32 v78, 2, v12
	global_load_dwordx4 v[12:15], v78, s[4:5] offset:348
	global_load_dword v84, v[24:25], off offset:364
	ds_read_u16 v85, v38
	v_lshlrev_b32_e32 v48, 1, v48
	s_waitcnt vmcnt(4) lgkmcnt(1)
	v_mul_f16_sdwa v24, v79, v0 dst_sel:DWORD dst_unused:UNUSED_PAD src0_sel:DWORD src1_sel:WORD_1
	v_mul_f16_sdwa v25, v73, v0 dst_sel:DWORD dst_unused:UNUSED_PAD src0_sel:DWORD src1_sel:WORD_1
	v_fma_f16 v24, v73, v0, -v24
	v_fma_f16 v0, v79, v0, v25
	ds_read_u16 v25, v29 offset:2160
	ds_read_u16 v73, v29 offset:2376
	;; [unrolled: 1-line block ×7, first 2 shown]
	s_waitcnt lgkmcnt(6)
	v_mul_f16_sdwa v80, v25, v1 dst_sel:DWORD dst_unused:UNUSED_PAD src0_sel:DWORD src1_sel:WORD_1
	v_fma_f16 v90, v72, v1, -v80
	v_mul_u32_u24_sdwa v80, v21, s0 dst_sel:DWORD dst_unused:UNUSED_PAD src0_sel:WORD_0 src1_sel:DWORD
	v_lshrrev_b32_e32 v91, 20, v80
	v_mul_lo_u16_e32 v80, 0x5a, v91
	v_sub_u16_e32 v92, v21, v80
	v_mul_u32_u24_e32 v80, 5, v92
	v_lshlrev_b32_e32 v93, 2, v80
	v_mul_f16_sdwa v72, v72, v1 dst_sel:DWORD dst_unused:UNUSED_PAD src0_sel:DWORD src1_sel:WORD_1
	global_load_dwordx4 v[80:83], v93, s[4:5] offset:348
	v_fma_f16 v1, v25, v1, v72
	ds_read_u16 v25, v29 offset:3240
	ds_read_u16 v72, v29 offset:3456
	;; [unrolled: 1-line block ×8, first 2 shown]
	s_waitcnt lgkmcnt(7)
	v_mul_f16_sdwa v100, v25, v2 dst_sel:DWORD dst_unused:UNUSED_PAD src0_sel:DWORD src1_sel:WORD_1
	v_fma_f16 v100, v71, v2, -v100
	v_mul_f16_sdwa v71, v71, v2 dst_sel:DWORD dst_unused:UNUSED_PAD src0_sel:DWORD src1_sel:WORD_1
	v_fma_f16 v2, v25, v2, v71
	s_waitcnt lgkmcnt(2)
	v_mul_f16_sdwa v25, v97, v3 dst_sel:DWORD dst_unused:UNUSED_PAD src0_sel:DWORD src1_sel:WORD_1
	v_fma_f16 v25, v68, v3, -v25
	v_mul_f16_sdwa v68, v68, v3 dst_sel:DWORD dst_unused:UNUSED_PAD src0_sel:DWORD src1_sel:WORD_1
	v_fma_f16 v3, v97, v3, v68
	global_load_dword v68, v76, s[4:5] offset:364
	ds_read_u16 v71, v29
	global_load_dword v77, v77, s[4:5] offset:364
	s_waitcnt vmcnt(6)
	v_mul_f16_sdwa v76, v86, v4 dst_sel:DWORD dst_unused:UNUSED_PAD src0_sel:DWORD src1_sel:WORD_1
	v_fma_f16 v76, v65, v4, -v76
	v_mul_f16_sdwa v65, v65, v4 dst_sel:DWORD dst_unused:UNUSED_PAD src0_sel:DWORD src1_sel:WORD_1
	v_fma_f16 v65, v86, v4, v65
	v_mul_f16_sdwa v4, v73, v5 dst_sel:DWORD dst_unused:UNUSED_PAD src0_sel:DWORD src1_sel:WORD_1
	v_fma_f16 v86, v66, v5, -v4
	v_mul_f16_sdwa v66, v66, v5 dst_sel:DWORD dst_unused:UNUSED_PAD src0_sel:DWORD src1_sel:WORD_1
	global_load_dword v4, v78, s[4:5] offset:364
	v_fma_f16 v66, v73, v5, v66
	v_mul_f16_sdwa v5, v72, v6 dst_sel:DWORD dst_unused:UNUSED_PAD src0_sel:DWORD src1_sel:WORD_1
	v_fma_f16 v5, v67, v6, -v5
	v_mul_f16_sdwa v67, v67, v6 dst_sel:DWORD dst_unused:UNUSED_PAD src0_sel:DWORD src1_sel:WORD_1
	v_fma_f16 v67, v72, v6, v67
	global_load_dword v6, v93, s[4:5] offset:364
	ds_read_u16 v72, v29 offset:4536
	ds_read_u16 v73, v29 offset:4752
	;; [unrolled: 1-line block ×8, first 2 shown]
	s_waitcnt lgkmcnt(7)
	v_mul_f16_sdwa v104, v72, v7 dst_sel:DWORD dst_unused:UNUSED_PAD src0_sel:DWORD src1_sel:WORD_1
	v_fma_f16 v104, v64, v7, -v104
	v_mul_f16_sdwa v64, v64, v7 dst_sel:DWORD dst_unused:UNUSED_PAD src0_sel:DWORD src1_sel:WORD_1
	v_fma_f16 v64, v72, v7, v64
	s_waitcnt vmcnt(7)
	v_mul_f16_sdwa v7, v87, v8 dst_sel:DWORD dst_unused:UNUSED_PAD src0_sel:DWORD src1_sel:WORD_1
	v_fma_f16 v7, v62, v8, -v7
	v_mul_f16_sdwa v62, v62, v8 dst_sel:DWORD dst_unused:UNUSED_PAD src0_sel:DWORD src1_sel:WORD_1
	v_fma_f16 v62, v87, v8, v62
	v_mul_f16_sdwa v8, v79, v9 dst_sel:DWORD dst_unused:UNUSED_PAD src0_sel:DWORD src1_sel:WORD_1
	v_fma_f16 v72, v59, v9, -v8
	v_mul_f16_sdwa v8, v59, v9 dst_sel:DWORD dst_unused:UNUSED_PAD src0_sel:DWORD src1_sel:WORD_1
	v_fma_f16 v59, v79, v9, v8
	v_mul_f16_sdwa v8, v94, v10 dst_sel:DWORD dst_unused:UNUSED_PAD src0_sel:DWORD src1_sel:WORD_1
	v_mul_f16_sdwa v9, v61, v10 dst_sel:DWORD dst_unused:UNUSED_PAD src0_sel:DWORD src1_sel:WORD_1
	v_fma_f16 v8, v61, v10, -v8
	v_fma_f16 v61, v94, v10, v9
	s_waitcnt lgkmcnt(6)
	v_mul_f16_sdwa v9, v73, v11 dst_sel:DWORD dst_unused:UNUSED_PAD src0_sel:DWORD src1_sel:WORD_1
	v_fma_f16 v79, v60, v11, -v9
	v_mul_f16_sdwa v9, v60, v11 dst_sel:DWORD dst_unused:UNUSED_PAD src0_sel:DWORD src1_sel:WORD_1
	v_fma_f16 v60, v73, v11, v9
	s_waitcnt vmcnt(6)
	v_mul_f16_sdwa v9, v88, v12 dst_sel:DWORD dst_unused:UNUSED_PAD src0_sel:DWORD src1_sel:WORD_1
	v_mul_f16_sdwa v10, v57, v12 dst_sel:DWORD dst_unused:UNUSED_PAD src0_sel:DWORD src1_sel:WORD_1
	v_fma_f16 v9, v57, v12, -v9
	v_fma_f16 v57, v88, v12, v10
	v_mul_f16_sdwa v10, v96, v13 dst_sel:DWORD dst_unused:UNUSED_PAD src0_sel:DWORD src1_sel:WORD_1
	v_fma_f16 v73, v55, v13, -v10
	v_mul_f16_sdwa v10, v55, v13 dst_sel:DWORD dst_unused:UNUSED_PAD src0_sel:DWORD src1_sel:WORD_1
	v_fma_f16 v55, v96, v13, v10
	v_mul_f16_sdwa v10, v95, v14 dst_sel:DWORD dst_unused:UNUSED_PAD src0_sel:DWORD src1_sel:WORD_1
	v_mul_f16_sdwa v11, v53, v14 dst_sel:DWORD dst_unused:UNUSED_PAD src0_sel:DWORD src1_sel:WORD_1
	v_fma_f16 v10, v53, v14, -v10
	v_fma_f16 v53, v95, v14, v11
	s_waitcnt lgkmcnt(5)
	v_mul_f16_sdwa v11, v78, v15 dst_sel:DWORD dst_unused:UNUSED_PAD src0_sel:DWORD src1_sel:WORD_1
	v_fma_f16 v87, v52, v15, -v11
	v_mul_f16_sdwa v11, v52, v15 dst_sel:DWORD dst_unused:UNUSED_PAD src0_sel:DWORD src1_sel:WORD_1
	v_fma_f16 v52, v78, v15, v11
	s_waitcnt vmcnt(5)
	v_mul_f16_sdwa v14, v50, v84 dst_sel:DWORD dst_unused:UNUSED_PAD src0_sel:DWORD src1_sel:WORD_1
	s_waitcnt lgkmcnt(3)
	v_fma_f16 v14, v97, v84, v14
	s_movk_i32 s0, 0x59
	v_cmp_lt_u32_e64 s[0:1], s0, v26
	s_waitcnt vmcnt(4)
	v_mul_f16_sdwa v11, v89, v80 dst_sel:DWORD dst_unused:UNUSED_PAD src0_sel:DWORD src1_sel:WORD_1
	v_mul_f16_sdwa v12, v56, v80 dst_sel:DWORD dst_unused:UNUSED_PAD src0_sel:DWORD src1_sel:WORD_1
	v_fma_f16 v11, v56, v80, -v11
	v_fma_f16 v56, v89, v80, v12
	v_mul_f16_sdwa v12, v99, v81 dst_sel:DWORD dst_unused:UNUSED_PAD src0_sel:DWORD src1_sel:WORD_1
	v_mul_f16_sdwa v13, v51, v82 dst_sel:DWORD dst_unused:UNUSED_PAD src0_sel:DWORD src1_sel:WORD_1
	v_fma_f16 v78, v58, v81, -v12
	v_mul_f16_sdwa v12, v58, v81 dst_sel:DWORD dst_unused:UNUSED_PAD src0_sel:DWORD src1_sel:WORD_1
	v_fma_f16 v80, v98, v82, v13
	v_mul_f16_sdwa v13, v93, v83 dst_sel:DWORD dst_unused:UNUSED_PAD src0_sel:DWORD src1_sel:WORD_1
	v_fma_f16 v58, v99, v81, v12
	v_fma_f16 v81, v54, v83, -v13
	v_mul_f16_sdwa v13, v54, v83 dst_sel:DWORD dst_unused:UNUSED_PAD src0_sel:DWORD src1_sel:WORD_1
	v_fma_f16 v54, v93, v83, v13
	v_mul_f16_sdwa v13, v97, v84 dst_sel:DWORD dst_unused:UNUSED_PAD src0_sel:DWORD src1_sel:WORD_1
	s_waitcnt vmcnt(3) lgkmcnt(2)
	v_mul_f16_sdwa v15, v101, v68 dst_sel:DWORD dst_unused:UNUSED_PAD src0_sel:DWORD src1_sel:WORD_1
	v_fma_f16 v13, v50, v84, -v13
	v_fma_f16 v15, v49, v68, -v15
	v_mul_f16_sdwa v49, v49, v68 dst_sel:DWORD dst_unused:UNUSED_PAD src0_sel:DWORD src1_sel:WORD_1
	ds_read_u16 v50, v29 offset:6264
	v_fma_f16 v68, v101, v68, v49
	s_waitcnt vmcnt(2) lgkmcnt(2)
	v_mul_f16_sdwa v49, v102, v77 dst_sel:DWORD dst_unused:UNUSED_PAD src0_sel:DWORD src1_sel:WORD_1
	v_fma_f16 v49, v46, v77, -v49
	v_mul_f16_sdwa v46, v46, v77 dst_sel:DWORD dst_unused:UNUSED_PAD src0_sel:DWORD src1_sel:WORD_1
	v_fma_f16 v77, v102, v77, v46
	s_waitcnt vmcnt(1) lgkmcnt(1)
	v_mul_f16_sdwa v46, v103, v4 dst_sel:DWORD dst_unused:UNUSED_PAD src0_sel:DWORD src1_sel:WORD_1
	v_mul_f16_sdwa v12, v98, v82 dst_sel:DWORD dst_unused:UNUSED_PAD src0_sel:DWORD src1_sel:WORD_1
	v_fma_f16 v46, v45, v4, -v46
	v_mul_f16_sdwa v45, v45, v4 dst_sel:DWORD dst_unused:UNUSED_PAD src0_sel:DWORD src1_sel:WORD_1
	v_fma_f16 v12, v51, v82, -v12
	v_fma_f16 v82, v103, v4, v45
	s_waitcnt vmcnt(0) lgkmcnt(0)
	v_mul_f16_sdwa v4, v50, v6 dst_sel:DWORD dst_unused:UNUSED_PAD src0_sel:DWORD src1_sel:WORD_1
	v_mul_f16_sdwa v45, v47, v6 dst_sel:DWORD dst_unused:UNUSED_PAD src0_sel:DWORD src1_sel:WORD_1
	v_fma_f16 v4, v47, v6, -v4
	v_fma_f16 v89, v50, v6, v45
	v_add_f16_e32 v6, v90, v25
	v_fma_f16 v6, v6, -0.5, v44
	v_sub_f16_e32 v45, v1, v3
	v_fma_f16 v47, v45, s2, v6
	v_fma_f16 v6, v45, s3, v6
	v_add_f16_e32 v45, v71, v1
	v_add_f16_e32 v45, v45, v3
	;; [unrolled: 1-line block ×4, first 2 shown]
	v_fma_f16 v1, v1, -0.5, v71
	v_add_f16_e32 v3, v3, v25
	v_sub_f16_e32 v25, v90, v25
	v_fma_f16 v44, v25, s3, v1
	v_fma_f16 v1, v25, s2, v1
	v_add_f16_e32 v25, v100, v13
	v_fma_f16 v25, v25, -0.5, v24
	v_sub_f16_e32 v50, v2, v14
	v_fma_f16 v51, v50, s2, v25
	v_fma_f16 v25, v50, s3, v25
	v_add_f16_e32 v50, v0, v2
	v_add_f16_e32 v2, v2, v14
	v_fma_f16 v0, v2, -0.5, v0
	v_add_f16_e32 v2, v24, v100
	v_add_f16_e32 v2, v2, v13
	v_sub_f16_e32 v13, v100, v13
	v_add_f16_e32 v50, v50, v14
	v_fma_f16 v14, v13, s3, v0
	v_mul_f16_e32 v24, 0xbaee, v51
	v_fma_f16 v0, v13, s2, v0
	v_mul_f16_e32 v13, 0x3aee, v14
	v_fma_f16 v14, v14, 0.5, v24
	v_mul_f16_e32 v24, -0.5, v25
	v_fma_f16 v24, v0, s2, v24
	v_mul_f16_e32 v0, -0.5, v0
	v_fma_f16 v0, v25, s3, v0
	v_add_f16_e32 v95, v1, v0
	v_sub_f16_e32 v0, v1, v0
	v_add_f16_e32 v1, v86, v104
	v_fma_f16 v13, v51, 0.5, v13
	v_add_f16_e32 v93, v44, v14
	v_sub_f16_e32 v94, v44, v14
	v_fma_f16 v1, v1, -0.5, v43
	v_sub_f16_e32 v14, v66, v64
	v_add_f16_e32 v25, v3, v2
	v_sub_f16_e32 v2, v3, v2
	v_add_f16_e32 v3, v47, v13
	;; [unrolled: 2-line block ×3, first 2 shown]
	v_sub_f16_e32 v6, v6, v24
	v_fma_f16 v24, v14, s2, v1
	v_fma_f16 v1, v14, s3, v1
	v_add_f16_e32 v14, v5, v15
	v_fma_f16 v14, v14, -0.5, v76
	v_sub_f16_e32 v44, v67, v68
	v_fma_f16 v96, v44, s2, v14
	v_fma_f16 v97, v44, s3, v14
	v_add_f16_e32 v14, v76, v5
	v_add_f16_e32 v14, v14, v15
	v_sub_f16_e32 v5, v5, v15
	v_add_f16_e32 v15, v67, v68
	v_fma_f16 v15, v15, -0.5, v65
	v_fma_f16 v76, v5, s3, v15
	v_fma_f16 v98, v5, s2, v15
	v_add_f16_e32 v5, v43, v86
	v_add_f16_e32 v5, v5, v104
	;; [unrolled: 1-line block ×3, first 2 shown]
	v_sub_f16_e32 v5, v5, v14
	v_mul_f16_e32 v14, 0x3aee, v76
	v_fma_f16 v14, v96, 0.5, v14
	v_add_f16_e32 v43, v24, v14
	v_sub_f16_e32 v14, v24, v14
	v_mul_f16_e32 v24, -0.5, v97
	v_fma_f16 v24, v98, s2, v24
	v_add_f16_e32 v44, v1, v24
	v_sub_f16_e32 v1, v1, v24
	v_add_f16_e32 v24, v72, v79
	v_add_f16_e32 v71, v45, v50
	v_sub_f16_e32 v90, v45, v50
	v_fma_f16 v24, v24, -0.5, v42
	v_sub_f16_e32 v45, v59, v60
	v_fma_f16 v50, v45, s2, v24
	v_fma_f16 v24, v45, s3, v24
	v_add_f16_e32 v45, v8, v49
	v_fma_f16 v45, v45, -0.5, v7
	v_sub_f16_e32 v51, v61, v77
	v_fma_f16 v99, v51, s2, v45
	v_fma_f16 v100, v51, s3, v45
	v_add_f16_e32 v45, v61, v77
	v_add_f16_e32 v7, v7, v8
	v_sub_f16_e32 v8, v8, v49
	v_fma_f16 v45, v45, -0.5, v62
	v_fma_f16 v101, v8, s3, v45
	v_fma_f16 v102, v8, s2, v45
	v_add_f16_e32 v8, v42, v72
	v_add_f16_e32 v7, v7, v49
	;; [unrolled: 1-line block ×4, first 2 shown]
	v_sub_f16_e32 v7, v8, v7
	v_mul_f16_e32 v8, 0x3aee, v101
	v_mul_f16_e32 v49, -0.5, v100
	v_fma_f16 v8, v99, 0.5, v8
	v_fma_f16 v49, v102, s2, v49
	v_add_f16_e32 v45, v50, v8
	v_sub_f16_e32 v8, v50, v8
	v_add_f16_e32 v50, v24, v49
	v_sub_f16_e32 v24, v24, v49
	v_add_f16_e32 v49, v73, v87
	v_fma_f16 v49, v49, -0.5, v41
	v_sub_f16_e32 v51, v55, v52
	v_fma_f16 v103, v51, s2, v49
	v_fma_f16 v49, v51, s3, v49
	v_add_f16_e32 v51, v10, v46
	v_fma_f16 v51, v51, -0.5, v9
	v_add_f16_e32 v9, v9, v10
	v_add_f16_e32 v9, v9, v46
	v_sub_f16_e32 v10, v10, v46
	v_add_f16_e32 v46, v53, v82
	v_fma_f16 v46, v46, -0.5, v57
	v_sub_f16_e32 v105, v53, v82
	v_fma_f16 v107, v10, s3, v46
	v_fma_f16 v108, v10, s2, v46
	v_add_f16_e32 v10, v41, v73
	v_fma_f16 v106, v105, s2, v51
	v_fma_f16 v105, v105, s3, v51
	v_add_f16_e32 v10, v10, v87
	v_add_f16_e32 v41, v10, v9
	v_sub_f16_e32 v9, v10, v9
	v_mul_f16_e32 v10, 0x3aee, v107
	v_mul_f16_e32 v51, -0.5, v105
	v_fma_f16 v10, v106, 0.5, v10
	v_fma_f16 v51, v108, s2, v51
	v_add_f16_e32 v46, v103, v10
	v_sub_f16_e32 v10, v103, v10
	v_add_f16_e32 v103, v49, v51
	v_sub_f16_e32 v49, v49, v51
	v_add_f16_e32 v51, v78, v81
	v_fma_f16 v51, v51, -0.5, v40
	v_sub_f16_e32 v109, v58, v54
	v_fma_f16 v110, v109, s2, v51
	v_fma_f16 v51, v109, s3, v51
	v_add_f16_e32 v109, v12, v4
	v_fma_f16 v109, v109, -0.5, v11
	v_add_f16_e32 v11, v11, v12
	v_add_f16_e32 v11, v11, v4
	v_sub_f16_e32 v4, v12, v4
	v_add_f16_e32 v12, v80, v89
	v_sub_f16_e32 v111, v80, v89
	v_fma_f16 v12, v12, -0.5, v56
	v_fma_f16 v112, v111, s2, v109
	v_fma_f16 v109, v111, s3, v109
	;; [unrolled: 1-line block ×4, first 2 shown]
	v_add_f16_e32 v4, v40, v78
	v_add_f16_e32 v4, v4, v81
	;; [unrolled: 1-line block ×3, first 2 shown]
	v_sub_f16_e32 v4, v4, v11
	v_mul_f16_e32 v11, 0x3aee, v111
	v_fma_f16 v11, v112, 0.5, v11
	v_add_f16_e32 v40, v110, v11
	v_sub_f16_e32 v11, v110, v11
	v_mul_f16_e32 v110, -0.5, v109
	v_fma_f16 v110, v113, s2, v110
	v_add_f16_e32 v114, v51, v110
	v_sub_f16_e32 v51, v51, v110
	v_mov_b32_e32 v110, 0x438
	v_cndmask_b32_e64 v110, 0, v110, s[0:1]
	v_add3_u32 v110, 0, v110, v48
	ds_read_u16 v83, v37
	ds_read_u16 v84, v33
	;; [unrolled: 1-line block ×3, first 2 shown]
	s_waitcnt lgkmcnt(0)
	s_barrier
	ds_write_b16 v110, v25
	ds_write_b16 v110, v3 offset:180
	ds_write_b16 v110, v47 offset:360
	;; [unrolled: 1-line block ×5, first 2 shown]
	v_lshlrev_b32_sdwa v2, v20, v63 dst_sel:DWORD dst_unused:UNUSED_PAD src0_sel:DWORD src1_sel:BYTE_0
	v_mul_u32_u24_e32 v3, 0x438, v22
	v_add3_u32 v2, 0, v3, v2
	ds_write_b16 v2, v15
	ds_write_b16 v2, v43 offset:180
	ds_write_b16 v2, v44 offset:360
	;; [unrolled: 1-line block ×5, first 2 shown]
	v_mul_u32_u24_e32 v1, 0x438, v69
	v_lshlrev_b32_e32 v3, 1, v70
	v_add3_u32 v1, 0, v1, v3
	v_mul_u32_u24_e32 v3, 0x438, v74
	v_lshlrev_b32_e32 v5, 1, v75
	v_add3_u32 v3, 0, v3, v5
	;; [unrolled: 3-line block ×3, first 2 shown]
	ds_write_b16 v1, v42
	ds_write_b16 v1, v45 offset:180
	ds_write_b16 v1, v50 offset:360
	ds_write_b16 v1, v7 offset:540
	ds_write_b16 v1, v8 offset:720
	ds_write_b16 v1, v24 offset:900
	ds_write_b16 v3, v41
	ds_write_b16 v3, v46 offset:180
	ds_write_b16 v3, v103 offset:360
	ds_write_b16 v3, v9 offset:540
	ds_write_b16 v3, v10 offset:720
	ds_write_b16 v3, v49 offset:900
	;; [unrolled: 6-line block ×3, first 2 shown]
	s_waitcnt lgkmcnt(0)
	s_barrier
	ds_read_u16 v5, v39
	ds_read_u16 v46, v38
	ds_read_u16 v39, v29 offset:2592
	ds_read_u16 v4, v29
	ds_read_u16 v11, v29 offset:1296
	ds_read_u16 v24, v29 offset:1512
	;; [unrolled: 1-line block ×22, first 2 shown]
	ds_read_u16 v37, v37
	ds_read_u16 v20, v33
	;; [unrolled: 1-line block ×3, first 2 shown]
	ds_read_u16 v51, v29 offset:6264
	s_waitcnt lgkmcnt(0)
	s_barrier
	ds_write_b16 v110, v71
	ds_write_b16 v110, v93 offset:180
	ds_write_b16 v110, v95 offset:360
	;; [unrolled: 1-line block ×5, first 2 shown]
	v_add_f16_e32 v0, v88, v66
	v_add_f16_e32 v63, v66, v64
	;; [unrolled: 1-line block ×3, first 2 shown]
	v_fma_f16 v63, v63, -0.5, v88
	v_sub_f16_e32 v64, v86, v104
	v_fma_f16 v66, v64, s3, v63
	v_fma_f16 v63, v64, s2, v63
	v_add_f16_e32 v64, v65, v67
	v_add_f16_e32 v64, v64, v68
	v_mul_f16_e32 v65, 0xbaee, v96
	v_mul_f16_e32 v67, -0.5, v98
	v_fma_f16 v65, v76, 0.5, v65
	v_fma_f16 v67, v97, s3, v67
	v_add_f16_e32 v68, v0, v64
	v_sub_f16_e32 v0, v0, v64
	v_add_f16_e32 v64, v66, v65
	v_sub_f16_e32 v65, v66, v65
	;; [unrolled: 2-line block ×3, first 2 shown]
	ds_write_b16 v2, v68
	ds_write_b16 v2, v64 offset:180
	ds_write_b16 v2, v66 offset:360
	;; [unrolled: 1-line block ×5, first 2 shown]
	v_add_f16_e32 v2, v59, v60
	v_add_f16_e32 v0, v84, v59
	v_fma_f16 v2, v2, -0.5, v84
	v_sub_f16_e32 v59, v72, v79
	v_add_f16_e32 v0, v0, v60
	v_fma_f16 v60, v59, s3, v2
	v_fma_f16 v2, v59, s2, v2
	v_add_f16_e32 v59, v62, v61
	v_mul_f16_e32 v61, 0xbaee, v99
	v_mul_f16_e32 v62, -0.5, v102
	v_add_f16_e32 v59, v59, v77
	v_fma_f16 v61, v101, 0.5, v61
	v_fma_f16 v62, v100, s3, v62
	v_add_f16_e32 v63, v0, v59
	v_sub_f16_e32 v0, v0, v59
	v_add_f16_e32 v59, v60, v61
	v_sub_f16_e32 v60, v60, v61
	;; [unrolled: 2-line block ×3, first 2 shown]
	v_add_f16_e32 v62, v83, v55
	v_add_f16_e32 v62, v62, v52
	;; [unrolled: 1-line block ×3, first 2 shown]
	v_fma_f16 v52, v52, -0.5, v83
	v_sub_f16_e32 v55, v73, v87
	v_fma_f16 v64, v55, s3, v52
	v_fma_f16 v52, v55, s2, v52
	v_add_f16_e32 v53, v57, v53
	v_mul_f16_e32 v55, 0xbaee, v106
	v_mul_f16_e32 v57, -0.5, v108
	v_add_f16_e32 v53, v53, v82
	v_fma_f16 v55, v107, 0.5, v55
	v_fma_f16 v57, v105, s3, v57
	v_add_f16_e32 v65, v62, v53
	v_sub_f16_e32 v53, v62, v53
	v_add_f16_e32 v62, v64, v55
	v_sub_f16_e32 v55, v64, v55
	;; [unrolled: 2-line block ×3, first 2 shown]
	v_add_f16_e32 v57, v85, v58
	v_add_f16_e32 v57, v57, v54
	;; [unrolled: 1-line block ×3, first 2 shown]
	v_fma_f16 v54, v54, -0.5, v85
	v_sub_f16_e32 v58, v78, v81
	v_fma_f16 v66, v58, s3, v54
	v_fma_f16 v54, v58, s2, v54
	v_add_f16_e32 v56, v56, v80
	v_mul_f16_e32 v58, 0xbaee, v112
	v_mul_f16_e32 v67, -0.5, v113
	v_add_f16_e32 v56, v56, v89
	v_fma_f16 v58, v111, 0.5, v58
	v_fma_f16 v67, v109, s3, v67
	v_add_f16_e32 v68, v57, v56
	v_sub_f16_e32 v56, v57, v56
	v_add_f16_e32 v57, v66, v58
	v_sub_f16_e32 v58, v66, v58
	;; [unrolled: 2-line block ×3, first 2 shown]
	ds_write_b16 v1, v63
	ds_write_b16 v1, v59 offset:180
	ds_write_b16 v1, v61 offset:360
	ds_write_b16 v1, v0 offset:540
	ds_write_b16 v1, v60 offset:720
	ds_write_b16 v1, v2 offset:900
	ds_write_b16 v3, v65
	ds_write_b16 v3, v62 offset:180
	ds_write_b16 v3, v64 offset:360
	ds_write_b16 v3, v53 offset:540
	ds_write_b16 v3, v55 offset:720
	ds_write_b16 v3, v52 offset:900
	;; [unrolled: 6-line block ×3, first 2 shown]
	s_waitcnt lgkmcnt(0)
	s_barrier
	s_and_saveexec_b64 s[0:1], vcc
	s_cbranch_execz .LBB0_15
; %bb.14:
	v_mul_i32_i24_e32 v22, 5, v21
	v_lshl_add_u64 v[52:53], v[22:23], 2, s[4:5]
	global_load_dwordx4 v[0:3], v[52:53], off offset:2148
	global_load_dword v56, v[52:53], off offset:2164
	v_mul_i32_i24_e32 v22, 5, v19
	v_sub_u32_e32 v58, 0, v34
	v_sub_u32_e32 v34, 0, v35
	v_sub_u32_e32 v21, 0, v36
	ds_read_u16 v35, v29 offset:6264
	ds_read_u16 v59, v29 offset:4320
	;; [unrolled: 1-line block ×14, first 2 shown]
	ds_read_u16 v70, v33
	ds_read_u16 v71, v32
	v_lshl_add_u64 v[32:33], v[22:23], 2, s[4:5]
	global_load_dwordx4 v[52:55], v[32:33], off offset:2148
	ds_read_u16 v72, v29 offset:6048
	ds_read_u16 v73, v29 offset:5832
	;; [unrolled: 1-line block ×4, first 2 shown]
	global_load_dword v76, v[32:33], off offset:2164
	ds_read_u16 v32, v29 offset:5184
	ds_read_u16 v78, v29 offset:4968
	v_add_u32_e32 v19, v31, v34
	ds_read_u16 v19, v19
	v_add_u32_e32 v21, v28, v21
	ds_read_u16 v21, v21
	;; [unrolled: 2-line block ×3, first 2 shown]
	s_waitcnt vmcnt(3)
	v_lshrrev_b32_e32 v31, 16, v1
	v_lshrrev_b32_e32 v33, 16, v2
	;; [unrolled: 1-line block ×3, first 2 shown]
	s_waitcnt lgkmcnt(14)
	v_mul_f16_e32 v77, v1, v57
	s_waitcnt lgkmcnt(4)
	v_mul_f16_e32 v79, v3, v32
	s_waitcnt vmcnt(2)
	v_lshrrev_b32_e32 v80, 16, v56
	v_mul_f16_e32 v81, v2, v36
	v_mul_f16_e32 v82, v56, v35
	v_lshrrev_b32_e32 v22, 16, v0
	v_mul_f16_e32 v83, v0, v68
	v_mul_f16_e32 v57, v31, v57
	;; [unrolled: 1-line block ×3, first 2 shown]
	v_fma_f16 v31, v49, v31, v77
	v_fma_f16 v34, v50, v34, v79
	v_mul_f16_e32 v36, v33, v36
	v_mul_f16_e32 v35, v80, v35
	v_fma_f16 v33, v48, v33, v81
	v_fma_f16 v77, v51, v80, v82
	v_mul_f16_e32 v68, v22, v68
	v_fma_f16 v22, v47, v22, v83
	v_fma_f16 v49, v49, v1, -v57
	v_add_f16_e32 v1, v31, v34
	v_fma_f16 v36, v48, v2, -v36
	v_fma_f16 v35, v51, v56, -v35
	v_add_f16_e32 v2, v33, v77
	v_fma_f16 v32, v50, v3, -v32
	v_fma_f16 v47, v47, v0, -v68
	s_waitcnt lgkmcnt(2)
	v_add_f16_e32 v3, v31, v19
	v_fma_f16 v1, v1, -0.5, v19
	v_add_f16_e32 v19, v36, v35
	v_sub_f16_e32 v50, v36, v35
	v_fma_f16 v2, v2, -0.5, v22
	ds_read_u16 v79, v29 offset:4752
	v_sub_f16_e32 v0, v33, v77
	v_add_f16_e32 v33, v22, v33
	v_sub_f16_e32 v48, v49, v32
	v_add_f16_e32 v22, v34, v3
	v_add_f16_e32 v3, v49, v32
	v_fma_f16 v19, v19, -0.5, v47
	v_fma_f16 v51, v50, s2, v2
	v_sub_f16_e32 v31, v31, v34
	v_fma_f16 v34, v48, s2, v1
	v_fma_f16 v48, v48, s3, v1
	;; [unrolled: 1-line block ×3, first 2 shown]
	v_fma_f16 v56, v3, -0.5, v46
	v_fma_f16 v1, v0, s3, v19
	v_mul_f16_e32 v3, -0.5, v51
	v_fma_f16 v19, v0, s2, v19
	v_fma_f16 v57, v31, s3, v56
	;; [unrolled: 1-line block ×3, first 2 shown]
	v_mul_f16_e32 v3, 0xbaee, v19
	v_fma_f16 v56, v31, s2, v56
	v_mul_f16_e32 v31, 0x3aee, v50
	v_add_f16_e32 v33, v33, v77
	v_mul_f16_e32 v1, -0.5, v1
	v_fma_f16 v77, v50, 0.5, v3
	v_fma_f16 v50, v19, 0.5, v31
	v_add_f16_e32 v31, v46, v49
	v_sub_f16_e32 v2, v22, v33
	v_fma_f16 v51, v51, s2, v1
	v_add_f16_e32 v46, v31, v32
	v_add_f16_e32 v31, v47, v36
	;; [unrolled: 1-line block ×3, first 2 shown]
	v_mul_i32_i24_e32 v22, 5, v18
	v_sub_f16_e32 v1, v57, v51
	v_sub_f16_e32 v19, v56, v50
	v_add_f16_e32 v47, v31, v35
	v_add_f16_e32 v33, v57, v51
	;; [unrolled: 1-line block ×3, first 2 shown]
	v_lshl_add_u64 v[56:57], v[22:23], 2, s[4:5]
	v_sub_f16_e32 v0, v34, v68
	v_sub_f16_e32 v3, v48, v77
	v_add_f16_e32 v32, v34, v68
	v_add_f16_e32 v34, v48, v77
	global_load_dwordx4 v[48:51], v[56:57], off offset:2148
	s_waitcnt vmcnt(2)
	v_lshrrev_b32_e32 v68, 16, v53
	v_lshrrev_b32_e32 v18, 16, v54
	v_mul_f16_e32 v77, v68, v64
	v_sub_f16_e32 v31, v46, v47
	v_add_f16_e32 v46, v46, v47
	v_lshrrev_b32_e32 v47, 16, v52
	v_fma_f16 v77, v44, v53, -v77
	v_mul_f16_e32 v53, v53, v64
	v_mul_f16_e32 v64, v18, v60
	;; [unrolled: 1-line block ×3, first 2 shown]
	v_fma_f16 v64, v42, v54, -v64
	v_mul_f16_e32 v54, v54, v60
	v_lshrrev_b32_e32 v22, 16, v55
	v_fma_f16 v58, v41, v52, -v58
	global_load_dword v56, v[56:57], off offset:2164
	s_waitcnt vmcnt(2)
	v_lshrrev_b32_e32 v57, 16, v76
	v_fma_f16 v18, v42, v18, v54
	v_mul_f16_e32 v42, v76, v72
	v_mul_f16_e32 v52, v52, v69
	;; [unrolled: 1-line block ×3, first 2 shown]
	v_fma_f16 v44, v44, v68, v53
	v_mul_f16_e32 v53, v55, v78
	v_mul_f16_e32 v68, v57, v72
	v_fma_f16 v42, v43, v57, v42
	v_fma_f16 v41, v41, v47, v52
	v_fma_f16 v80, v45, v55, -v80
	v_fma_f16 v22, v45, v22, v53
	v_fma_f16 v68, v43, v76, -v68
	v_sub_f16_e32 v43, v18, v42
	v_add_f16_e32 v47, v18, v42
	v_add_f16_e32 v18, v41, v18
	;; [unrolled: 1-line block ×4, first 2 shown]
	v_sub_f16_e32 v57, v64, v68
	v_fma_f16 v47, v47, -0.5, v41
	v_add_f16_e32 v18, v18, v42
	v_add_f16_e32 v42, v77, v80
	v_sub_f16_e32 v81, v77, v80
	ds_read_u16 v55, v29 offset:1512
	v_fma_f16 v78, v78, -0.5, v58
	v_fma_f16 v52, v57, s2, v47
	v_fma_f16 v42, v42, -0.5, v37
	v_add_f16_e32 v37, v37, v77
	ds_read_u16 v77, v29 offset:4536
	s_waitcnt lgkmcnt(3)
	v_fma_f16 v45, v45, -0.5, v30
	v_add_f16_e32 v30, v44, v30
	v_fma_f16 v54, v43, s3, v78
	v_mul_f16_e32 v60, -0.5, v52
	v_fma_f16 v47, v57, s3, v47
	v_add_f16_e32 v30, v22, v30
	v_sub_f16_e32 v22, v44, v22
	v_fma_f16 v60, v54, s3, v60
	v_fma_f16 v43, v43, s2, v78
	;; [unrolled: 1-line block ×3, first 2 shown]
	v_mul_f16_e32 v54, -0.5, v54
	v_fma_f16 v22, v22, s2, v42
	v_mul_f16_e32 v42, 0x3aee, v47
	v_mul_f16_e32 v57, 0xbaee, v43
	v_fma_f16 v52, v52, s2, v54
	v_fma_f16 v42, v43, 0.5, v42
	v_fma_f16 v57, v47, 0.5, v57
	v_sub_f16_e32 v41, v30, v18
	v_sub_f16_e32 v54, v44, v52
	;; [unrolled: 1-line block ×3, first 2 shown]
	v_add_f16_e32 v43, v58, v64
	v_add_f16_e32 v18, v30, v18
	;; [unrolled: 1-line block ×4, first 2 shown]
	v_mul_i32_i24_e32 v22, 5, v27
	v_fma_f16 v53, v81, s2, v45
	v_fma_f16 v45, v81, s3, v45
	v_add_f16_e32 v37, v37, v80
	v_add_f16_e32 v43, v43, v68
	v_lshl_add_u64 v[22:23], v[22:23], 2, s[4:5]
	v_sub_f16_e32 v72, v45, v57
	v_sub_f16_e32 v58, v37, v43
	v_add_f16_e32 v57, v45, v57
	v_add_f16_e32 v37, v37, v43
	global_load_dwordx4 v[42:45], v[22:23], off offset:2148
	v_sub_f16_e32 v69, v53, v60
	v_add_f16_e32 v53, v53, v60
	s_waitcnt vmcnt(2)
	v_lshrrev_b32_e32 v60, 16, v49
	v_mul_f16_e32 v76, v60, v65
	v_lshrrev_b32_e32 v68, 16, v51
	v_fma_f16 v76, v39, v49, -v76
	v_mul_f16_e32 v49, v49, v65
	v_lshrrev_b32_e32 v64, 16, v50
	s_waitcnt lgkmcnt(2)
	v_mul_f16_e32 v78, v68, v79
	v_fma_f16 v39, v39, v60, v49
	v_mul_f16_e32 v49, v51, v79
	global_load_dword v79, v[22:23], off offset:2164
	v_fma_f16 v78, v40, v51, -v78
	v_fma_f16 v40, v40, v68, v49
	v_mul_f16_e32 v68, v64, v61
	v_lshrrev_b32_e32 v27, 16, v48
	v_fma_f16 v22, v25, v50, -v68
	v_mul_f16_e32 v50, v50, v61
	ds_read_u16 v60, v29 offset:1296
	s_waitcnt lgkmcnt(2)
	v_mul_f16_e32 v65, v27, v55
	s_waitcnt vmcnt(2)
	v_lshrrev_b32_e32 v23, 16, v56
	v_fma_f16 v25, v25, v64, v50
	v_mul_f16_e32 v50, v56, v73
	v_fma_f16 v65, v24, v48, -v65
	v_mul_f16_e32 v68, v23, v73
	v_fma_f16 v23, v38, v23, v50
	v_mul_f16_e32 v48, v48, v55
	v_fma_f16 v68, v38, v56, -v68
	v_fma_f16 v24, v24, v27, v48
	v_add_f16_e32 v27, v25, v23
	v_add_f16_e32 v81, v22, v68
	v_sub_f16_e32 v56, v22, v68
	v_fma_f16 v27, v27, -0.5, v24
	v_add_f16_e32 v49, v39, v40
	v_fma_f16 v81, v81, -0.5, v65
	v_sub_f16_e32 v38, v25, v23
	v_fma_f16 v48, v56, s2, v27
	v_add_f16_e32 v24, v24, v25
	v_sub_f16_e32 v80, v76, v78
	v_fma_f16 v49, v49, -0.5, v70
	v_fma_f16 v50, v38, s3, v81
	v_mul_f16_e32 v55, -0.5, v48
	v_add_f16_e32 v73, v24, v23
	v_add_f16_e32 v23, v76, v78
	;; [unrolled: 1-line block ×3, first 2 shown]
	v_fma_f16 v51, v80, s2, v49
	v_fma_f16 v55, v50, s3, v55
	;; [unrolled: 1-line block ×4, first 2 shown]
	v_fma_f16 v23, v23, -0.5, v20
	v_sub_f16_e32 v24, v39, v40
	v_add_f16_e32 v65, v22, v68
	v_mul_u32_u24_e32 v22, 5, v26
	v_sub_f16_e32 v61, v51, v55
	v_mul_f16_e32 v56, 0xbaee, v38
	v_add_f16_e32 v70, v39, v70
	v_fma_f16 v39, v24, s3, v23
	v_mul_f16_e32 v25, -0.5, v50
	v_fma_f16 v50, v24, s2, v23
	v_mul_f16_e32 v23, 0x3aee, v27
	v_add_f16_e32 v51, v51, v55
	v_lshlrev_b32_e32 v55, 2, v22
	v_fma_f16 v56, v27, 0.5, v56
	v_add_f16_e32 v70, v40, v70
	v_fma_f16 v40, v48, s2, v25
	v_fma_f16 v27, v38, 0.5, v23
	global_load_dwordx4 v[22:25], v55, s[4:5] offset:2148
	v_fma_f16 v49, v80, s3, v49
	v_sub_f16_e32 v38, v50, v27
	v_add_f16_e32 v27, v50, v27
	v_sub_f16_e32 v64, v49, v56
	v_sub_f16_e32 v80, v70, v73
	v_add_f16_e32 v49, v49, v56
	v_add_f16_e32 v56, v70, v73
	;; [unrolled: 1-line block ×4, first 2 shown]
	v_sub_f16_e32 v68, v20, v65
	v_add_f16_e32 v20, v20, v65
	v_sub_f16_e32 v48, v39, v40
	s_waitcnt vmcnt(2)
	v_lshrrev_b32_e32 v50, 16, v43
	v_mul_f16_e32 v73, v50, v66
	v_fma_f16 v73, v15, v43, -v73
	v_mul_f16_e32 v43, v43, v66
	v_fma_f16 v15, v15, v50, v43
	global_load_dword v50, v55, s[4:5] offset:2164
	v_lshrrev_b32_e32 v65, 16, v44
	v_lshrrev_b32_e32 v70, 16, v45
	s_waitcnt lgkmcnt(1)
	v_mul_f16_e32 v76, v70, v77
	v_mul_f16_e32 v43, v45, v77
	;; [unrolled: 1-line block ×3, first 2 shown]
	v_add_f16_e32 v39, v39, v40
	v_lshrrev_b32_e32 v40, 16, v42
	v_fma_f16 v76, v14, v45, -v76
	v_fma_f16 v14, v14, v70, v43
	v_fma_f16 v66, v12, v44, -v66
	s_waitcnt vmcnt(2)
	v_lshrrev_b32_e32 v70, 16, v79
	v_mul_f16_e32 v44, v44, v62
	s_waitcnt lgkmcnt(0)
	v_mul_f16_e32 v55, v40, v60
	v_mul_f16_e32 v77, v70, v74
	v_fma_f16 v12, v12, v65, v44
	v_mul_f16_e32 v44, v79, v74
	v_fma_f16 v55, v11, v42, -v55
	v_fma_f16 v77, v13, v79, -v77
	v_fma_f16 v13, v13, v70, v44
	v_mul_f16_e32 v42, v42, v60
	v_fma_f16 v11, v11, v40, v42
	v_add_f16_e32 v40, v12, v13
	v_add_f16_e32 v81, v66, v77
	v_sub_f16_e32 v65, v66, v77
	v_fma_f16 v40, v40, -0.5, v11
	v_add_f16_e32 v43, v15, v14
	v_fma_f16 v81, v81, -0.5, v55
	v_sub_f16_e32 v44, v12, v13
	v_fma_f16 v42, v65, s2, v40
	v_add_f16_e32 v11, v11, v12
	v_fma_f16 v43, v43, -0.5, v71
	v_fma_f16 v62, v44, s3, v81
	v_mul_f16_e32 v60, -0.5, v42
	v_add_f16_e32 v71, v15, v71
	v_add_f16_e32 v11, v11, v13
	;; [unrolled: 1-line block ×3, first 2 shown]
	v_fma_f16 v60, v62, s3, v60
	v_fma_f16 v40, v65, s3, v40
	;; [unrolled: 1-line block ×3, first 2 shown]
	v_add_f16_e32 v71, v14, v71
	v_fma_f16 v13, v13, -0.5, v10
	v_sub_f16_e32 v14, v15, v14
	v_mul_f16_e32 v62, -0.5, v62
	v_sub_f16_e32 v78, v73, v76
	v_mul_f16_e32 v65, 0xbaee, v44
	v_fma_f16 v15, v14, s3, v13
	v_fma_f16 v42, v42, s2, v62
	;; [unrolled: 1-line block ×3, first 2 shown]
	v_mul_f16_e32 v14, 0x3aee, v40
	v_fma_f16 v45, v78, s2, v43
	v_fma_f16 v43, v78, s3, v43
	v_fma_f16 v65, v40, 0.5, v65
	v_sub_f16_e32 v62, v15, v42
	v_fma_f16 v14, v44, 0.5, v14
	v_add_f16_e32 v10, v10, v73
	v_add_f16_e32 v44, v55, v66
	;; [unrolled: 1-line block ×3, first 2 shown]
	v_sub_f16_e32 v74, v43, v65
	v_add_f16_e32 v10, v10, v76
	v_add_f16_e32 v44, v44, v77
	;; [unrolled: 1-line block ×3, first 2 shown]
	s_waitcnt vmcnt(1)
	v_lshrrev_b32_e32 v42, 16, v23
	v_mul_f16_e32 v65, v42, v67
	v_sub_f16_e32 v55, v10, v44
	v_add_f16_e32 v10, v10, v44
	v_lshrrev_b32_e32 v44, 16, v24
	v_fma_f16 v65, v9, v23, -v65
	v_mul_f16_e32 v23, v23, v67
	v_sub_f16_e32 v70, v45, v60
	v_add_f16_e32 v45, v45, v60
	v_lshrrev_b32_e32 v60, 16, v25
	v_fma_f16 v9, v9, v42, v23
	v_mul_f16_e32 v42, v44, v63
	ds_read_u16 v29, v29
	v_mul_f16_e32 v66, v60, v59
	v_mul_f16_e32 v23, v25, v59
	v_fma_f16 v42, v6, v24, -v42
	v_mul_f16_e32 v24, v24, v63
	v_sub_f16_e32 v40, v13, v14
	s_waitcnt vmcnt(0)
	v_lshrrev_b32_e32 v59, 16, v50
	v_add_f16_e32 v13, v13, v14
	v_lshrrev_b32_e32 v14, 16, v22
	v_fma_f16 v66, v8, v25, -v66
	v_fma_f16 v8, v8, v60, v23
	v_mul_f16_e32 v60, v59, v75
	v_fma_f16 v6, v6, v44, v24
	v_mul_f16_e32 v24, v50, v75
	v_mul_f16_e32 v28, v14, v21
	v_fma_f16 v60, v7, v50, -v60
	v_fma_f16 v7, v7, v59, v24
	v_mul_f16_e32 v21, v22, v21
	v_fma_f16 v28, v5, v22, -v28
	v_fma_f16 v5, v5, v14, v21
	v_add_f16_e32 v14, v6, v7
	v_add_f16_e32 v23, v9, v8
	;; [unrolled: 1-line block ×3, first 2 shown]
	v_sub_f16_e32 v24, v6, v7
	v_sub_f16_e32 v50, v42, v60
	v_fma_f16 v14, v14, -0.5, v5
	v_add_f16_e32 v5, v5, v6
	v_add_f16_e32 v6, v65, v66
	s_waitcnt lgkmcnt(0)
	v_fma_f16 v23, v23, -0.5, v29
	v_fma_f16 v67, v67, -0.5, v28
	v_fma_f16 v21, v50, s2, v14
	v_fma_f16 v14, v50, s3, v14
	v_add_f16_e32 v29, v9, v29
	v_add_f16_e32 v5, v5, v7
	v_fma_f16 v6, v6, -0.5, v4
	v_sub_f16_e32 v7, v9, v8
	v_fma_f16 v44, v24, s3, v67
	v_fma_f16 v24, v24, s2, v67
	v_add_f16_e32 v29, v8, v29
	v_fma_f16 v8, v7, s3, v6
	v_fma_f16 v6, v7, s2, v6
	v_mul_f16_e32 v7, 0x3aee, v14
	v_sub_f16_e32 v12, v71, v11
	v_add_f16_e32 v11, v71, v11
	v_sub_f16_e32 v71, v65, v66
	v_mul_f16_e32 v22, -0.5, v21
	v_mul_f16_e32 v50, 0xbaee, v24
	v_fma_f16 v7, v24, 0.5, v7
	v_add_f16_e32 v4, v4, v65
	v_add_f16_e32 v24, v28, v42
	v_fma_f16 v25, v71, s2, v23
	v_fma_f16 v22, v44, s3, v22
	v_mul_f16_e32 v9, -0.5, v44
	v_add_f16_e32 v4, v4, v66
	v_add_f16_e32 v24, v24, v60
	v_sub_f16_e32 v59, v25, v22
	v_sub_f16_e32 v67, v29, v5
	v_fma_f16 v9, v21, s2, v9
	v_sub_f16_e32 v28, v4, v24
	v_add_f16_e32 v22, v25, v22
	v_add_f16_e32 v25, v29, v5
	;; [unrolled: 1-line block ×3, first 2 shown]
	v_mad_u64_u32 v[4:5], s[0:1], s8, v26, 0
	v_fma_f16 v50, v14, 0.5, v50
	v_sub_f16_e32 v21, v8, v9
	v_sub_f16_e32 v14, v6, v7
	v_add_f16_e32 v8, v8, v9
	v_add_f16_e32 v9, v6, v7
	v_mov_b32_e32 v6, v5
	v_mad_u64_u32 v[6:7], s[0:1], s9, v26, v[6:7]
	v_mov_b32_e32 v5, v6
	v_lshl_add_u64 v[4:5], v[4:5], 2, v[16:17]
	v_pack_b32_f16 v6, v24, v25
	v_add_u32_e32 v7, 0x21c, v26
	global_store_dword v[4:5], v6, off
	v_mad_u64_u32 v[4:5], s[0:1], s8, v7, 0
	v_mov_b32_e32 v6, v5
	v_fma_f16 v23, v71, s3, v23
	v_mad_u64_u32 v[6:7], s[0:1], s9, v7, v[6:7]
	v_sub_f16_e32 v63, v23, v50
	v_add_f16_e32 v23, v23, v50
	v_mov_b32_e32 v5, v6
	v_lshl_add_u64 v[4:5], v[4:5], 2, v[16:17]
	v_pack_b32_f16 v6, v9, v23
	v_add_u32_e32 v7, 0x438, v26
	global_store_dword v[4:5], v6, off
	v_mad_u64_u32 v[4:5], s[0:1], s8, v7, 0
	v_mov_b32_e32 v6, v5
	v_mad_u64_u32 v[6:7], s[0:1], s9, v7, v[6:7]
	v_mov_b32_e32 v5, v6
	v_lshl_add_u64 v[4:5], v[4:5], 2, v[16:17]
	v_pack_b32_f16 v6, v8, v22
	v_add_u32_e32 v7, 0x654, v26
	global_store_dword v[4:5], v6, off
	v_mad_u64_u32 v[4:5], s[0:1], s8, v7, 0
	v_mov_b32_e32 v6, v5
	v_mad_u64_u32 v[6:7], s[0:1], s9, v7, v[6:7]
	;; [unrolled: 8-line block ×22, first 2 shown]
	v_mov_b32_e32 v5, v6
	v_lshl_add_u64 v[4:5], v[4:5], 2, v[16:17]
	v_pack_b32_f16 v6, v54, v69
	global_store_dword v[4:5], v6, off
	v_add_u32_e32 v4, 0x1b0, v26
	s_mov_b32 s0, 0xf2b9d649
	v_mul_hi_u32 v5, v4, s0
	s_movk_i32 s2, 0xa8c
	v_lshrrev_b32_e32 v5, 9, v5
	v_mad_u32_u24 v8, v5, s2, v4
	v_mad_u64_u32 v[4:5], s[0:1], s8, v8, 0
	v_mov_b32_e32 v6, v5
	v_mad_u64_u32 v[6:7], s[0:1], s9, v8, v[6:7]
	v_mov_b32_e32 v5, v6
	v_lshl_add_u64 v[4:5], v[4:5], 2, v[16:17]
	v_pack_b32_f16 v6, v46, v36
	v_add_u32_e32 v7, 0x21c, v8
	global_store_dword v[4:5], v6, off
	v_mad_u64_u32 v[4:5], s[0:1], s8, v7, 0
	v_mov_b32_e32 v6, v5
	v_mad_u64_u32 v[6:7], s[0:1], s9, v7, v[6:7]
	v_mov_b32_e32 v5, v6
	v_lshl_add_u64 v[4:5], v[4:5], 2, v[16:17]
	v_pack_b32_f16 v6, v35, v34
	v_add_u32_e32 v7, 0x438, v8
	global_store_dword v[4:5], v6, off
	;; [unrolled: 8-line block ×4, first 2 shown]
	v_mad_u64_u32 v[4:5], s[0:1], s8, v6, 0
	v_mov_b32_e32 v2, v5
	v_mad_u64_u32 v[6:7], s[0:1], s9, v6, v[2:3]
	v_mov_b32_e32 v5, v6
	v_lshl_add_u64 v[4:5], v[4:5], 2, v[16:17]
	v_pack_b32_f16 v2, v19, v3
	global_store_dword v[4:5], v2, off
	v_add_u32_e32 v5, 0xa8c, v8
	v_mad_u64_u32 v[2:3], s[0:1], s8, v5, 0
	v_mov_b32_e32 v4, v3
	v_mad_u64_u32 v[4:5], s[0:1], s9, v5, v[4:5]
	v_mov_b32_e32 v3, v4
	v_lshl_add_u64 v[2:3], v[2:3], 2, v[16:17]
	v_pack_b32_f16 v0, v1, v0
	global_store_dword v[2:3], v0, off
.LBB0_15:
	s_endpgm
	.section	.rodata,"a",@progbits
	.p2align	6, 0x0
	.amdhsa_kernel fft_rtc_fwd_len3240_factors_3_3_10_6_6_wgs_108_tpt_108_halfLds_half_ip_CI_sbrr_dirReg
		.amdhsa_group_segment_fixed_size 0
		.amdhsa_private_segment_fixed_size 0
		.amdhsa_kernarg_size 88
		.amdhsa_user_sgpr_count 2
		.amdhsa_user_sgpr_dispatch_ptr 0
		.amdhsa_user_sgpr_queue_ptr 0
		.amdhsa_user_sgpr_kernarg_segment_ptr 1
		.amdhsa_user_sgpr_dispatch_id 0
		.amdhsa_user_sgpr_kernarg_preload_length 0
		.amdhsa_user_sgpr_kernarg_preload_offset 0
		.amdhsa_user_sgpr_private_segment_size 0
		.amdhsa_uses_dynamic_stack 0
		.amdhsa_enable_private_segment 0
		.amdhsa_system_sgpr_workgroup_id_x 1
		.amdhsa_system_sgpr_workgroup_id_y 0
		.amdhsa_system_sgpr_workgroup_id_z 0
		.amdhsa_system_sgpr_workgroup_info 0
		.amdhsa_system_vgpr_workitem_id 0
		.amdhsa_next_free_vgpr 125
		.amdhsa_next_free_sgpr 24
		.amdhsa_accum_offset 128
		.amdhsa_reserve_vcc 1
		.amdhsa_float_round_mode_32 0
		.amdhsa_float_round_mode_16_64 0
		.amdhsa_float_denorm_mode_32 3
		.amdhsa_float_denorm_mode_16_64 3
		.amdhsa_dx10_clamp 1
		.amdhsa_ieee_mode 1
		.amdhsa_fp16_overflow 0
		.amdhsa_tg_split 0
		.amdhsa_exception_fp_ieee_invalid_op 0
		.amdhsa_exception_fp_denorm_src 0
		.amdhsa_exception_fp_ieee_div_zero 0
		.amdhsa_exception_fp_ieee_overflow 0
		.amdhsa_exception_fp_ieee_underflow 0
		.amdhsa_exception_fp_ieee_inexact 0
		.amdhsa_exception_int_div_zero 0
	.end_amdhsa_kernel
	.text
.Lfunc_end0:
	.size	fft_rtc_fwd_len3240_factors_3_3_10_6_6_wgs_108_tpt_108_halfLds_half_ip_CI_sbrr_dirReg, .Lfunc_end0-fft_rtc_fwd_len3240_factors_3_3_10_6_6_wgs_108_tpt_108_halfLds_half_ip_CI_sbrr_dirReg
                                        ; -- End function
	.section	.AMDGPU.csdata,"",@progbits
; Kernel info:
; codeLenInByte = 20416
; NumSgprs: 30
; NumVgprs: 125
; NumAgprs: 0
; TotalNumVgprs: 125
; ScratchSize: 0
; MemoryBound: 0
; FloatMode: 240
; IeeeMode: 1
; LDSByteSize: 0 bytes/workgroup (compile time only)
; SGPRBlocks: 3
; VGPRBlocks: 15
; NumSGPRsForWavesPerEU: 30
; NumVGPRsForWavesPerEU: 125
; AccumOffset: 128
; Occupancy: 4
; WaveLimiterHint : 1
; COMPUTE_PGM_RSRC2:SCRATCH_EN: 0
; COMPUTE_PGM_RSRC2:USER_SGPR: 2
; COMPUTE_PGM_RSRC2:TRAP_HANDLER: 0
; COMPUTE_PGM_RSRC2:TGID_X_EN: 1
; COMPUTE_PGM_RSRC2:TGID_Y_EN: 0
; COMPUTE_PGM_RSRC2:TGID_Z_EN: 0
; COMPUTE_PGM_RSRC2:TIDIG_COMP_CNT: 0
; COMPUTE_PGM_RSRC3_GFX90A:ACCUM_OFFSET: 31
; COMPUTE_PGM_RSRC3_GFX90A:TG_SPLIT: 0
	.text
	.p2alignl 6, 3212836864
	.fill 256, 4, 3212836864
	.type	__hip_cuid_1324d27c4709c436,@object ; @__hip_cuid_1324d27c4709c436
	.section	.bss,"aw",@nobits
	.globl	__hip_cuid_1324d27c4709c436
__hip_cuid_1324d27c4709c436:
	.byte	0                               ; 0x0
	.size	__hip_cuid_1324d27c4709c436, 1

	.ident	"AMD clang version 19.0.0git (https://github.com/RadeonOpenCompute/llvm-project roc-6.4.0 25133 c7fe45cf4b819c5991fe208aaa96edf142730f1d)"
	.section	".note.GNU-stack","",@progbits
	.addrsig
	.addrsig_sym __hip_cuid_1324d27c4709c436
	.amdgpu_metadata
---
amdhsa.kernels:
  - .agpr_count:     0
    .args:
      - .actual_access:  read_only
        .address_space:  global
        .offset:         0
        .size:           8
        .value_kind:     global_buffer
      - .offset:         8
        .size:           8
        .value_kind:     by_value
      - .actual_access:  read_only
        .address_space:  global
        .offset:         16
        .size:           8
        .value_kind:     global_buffer
      - .actual_access:  read_only
        .address_space:  global
        .offset:         24
        .size:           8
        .value_kind:     global_buffer
      - .offset:         32
        .size:           8
        .value_kind:     by_value
      - .actual_access:  read_only
        .address_space:  global
        .offset:         40
        .size:           8
        .value_kind:     global_buffer
      - .actual_access:  read_only
        .address_space:  global
        .offset:         48
        .size:           8
        .value_kind:     global_buffer
      - .offset:         56
        .size:           4
        .value_kind:     by_value
      - .actual_access:  read_only
        .address_space:  global
        .offset:         64
        .size:           8
        .value_kind:     global_buffer
      - .actual_access:  read_only
        .address_space:  global
        .offset:         72
        .size:           8
        .value_kind:     global_buffer
      - .address_space:  global
        .offset:         80
        .size:           8
        .value_kind:     global_buffer
    .group_segment_fixed_size: 0
    .kernarg_segment_align: 8
    .kernarg_segment_size: 88
    .language:       OpenCL C
    .language_version:
      - 2
      - 0
    .max_flat_workgroup_size: 108
    .name:           fft_rtc_fwd_len3240_factors_3_3_10_6_6_wgs_108_tpt_108_halfLds_half_ip_CI_sbrr_dirReg
    .private_segment_fixed_size: 0
    .sgpr_count:     30
    .sgpr_spill_count: 0
    .symbol:         fft_rtc_fwd_len3240_factors_3_3_10_6_6_wgs_108_tpt_108_halfLds_half_ip_CI_sbrr_dirReg.kd
    .uniform_work_group_size: 1
    .uses_dynamic_stack: false
    .vgpr_count:     125
    .vgpr_spill_count: 0
    .wavefront_size: 64
amdhsa.target:   amdgcn-amd-amdhsa--gfx950
amdhsa.version:
  - 1
  - 2
...

	.end_amdgpu_metadata
